;; amdgpu-corpus repo=ROCm/rocFFT kind=compiled arch=gfx906 opt=O3
	.text
	.amdgcn_target "amdgcn-amd-amdhsa--gfx906"
	.amdhsa_code_object_version 6
	.protected	fft_rtc_back_len2160_factors_10_6_6_6_wgs_60_tpt_60_halfLds_half_ip_CI_unitstride_sbrr_R2C_dirReg ; -- Begin function fft_rtc_back_len2160_factors_10_6_6_6_wgs_60_tpt_60_halfLds_half_ip_CI_unitstride_sbrr_R2C_dirReg
	.globl	fft_rtc_back_len2160_factors_10_6_6_6_wgs_60_tpt_60_halfLds_half_ip_CI_unitstride_sbrr_R2C_dirReg
	.p2align	8
	.type	fft_rtc_back_len2160_factors_10_6_6_6_wgs_60_tpt_60_halfLds_half_ip_CI_unitstride_sbrr_R2C_dirReg,@function
fft_rtc_back_len2160_factors_10_6_6_6_wgs_60_tpt_60_halfLds_half_ip_CI_unitstride_sbrr_R2C_dirReg: ; @fft_rtc_back_len2160_factors_10_6_6_6_wgs_60_tpt_60_halfLds_half_ip_CI_unitstride_sbrr_R2C_dirReg
; %bb.0:
	s_load_dwordx2 s[2:3], s[4:5], 0x50
	s_load_dwordx4 s[8:11], s[4:5], 0x0
	s_load_dwordx2 s[12:13], s[4:5], 0x18
	v_mul_u32_u24_e32 v1, 0x445, v0
	v_add_u32_sdwa v5, s6, v1 dst_sel:DWORD dst_unused:UNUSED_PAD src0_sel:DWORD src1_sel:WORD_1
	v_mov_b32_e32 v3, 0
	s_waitcnt lgkmcnt(0)
	v_cmp_lt_u64_e64 s[0:1], s[10:11], 2
	v_mov_b32_e32 v1, 0
	v_mov_b32_e32 v6, v3
	s_and_b64 vcc, exec, s[0:1]
	v_mov_b32_e32 v2, 0
	s_cbranch_vccnz .LBB0_8
; %bb.1:
	s_load_dwordx2 s[0:1], s[4:5], 0x10
	s_add_u32 s6, s12, 8
	s_addc_u32 s7, s13, 0
	v_mov_b32_e32 v1, 0
	v_mov_b32_e32 v2, 0
	s_waitcnt lgkmcnt(0)
	s_add_u32 s14, s0, 8
	s_addc_u32 s15, s1, 0
	s_mov_b64 s[16:17], 1
.LBB0_2:                                ; =>This Inner Loop Header: Depth=1
	s_load_dwordx2 s[18:19], s[14:15], 0x0
                                        ; implicit-def: $vgpr7_vgpr8
	s_waitcnt lgkmcnt(0)
	v_or_b32_e32 v4, s19, v6
	v_cmp_ne_u64_e32 vcc, 0, v[3:4]
	s_and_saveexec_b64 s[0:1], vcc
	s_xor_b64 s[20:21], exec, s[0:1]
	s_cbranch_execz .LBB0_4
; %bb.3:                                ;   in Loop: Header=BB0_2 Depth=1
	v_cvt_f32_u32_e32 v4, s18
	v_cvt_f32_u32_e32 v7, s19
	s_sub_u32 s0, 0, s18
	s_subb_u32 s1, 0, s19
	v_mac_f32_e32 v4, 0x4f800000, v7
	v_rcp_f32_e32 v4, v4
	v_mul_f32_e32 v4, 0x5f7ffffc, v4
	v_mul_f32_e32 v7, 0x2f800000, v4
	v_trunc_f32_e32 v7, v7
	v_mac_f32_e32 v4, 0xcf800000, v7
	v_cvt_u32_f32_e32 v7, v7
	v_cvt_u32_f32_e32 v4, v4
	v_mul_lo_u32 v8, s0, v7
	v_mul_hi_u32 v9, s0, v4
	v_mul_lo_u32 v11, s1, v4
	v_mul_lo_u32 v10, s0, v4
	v_add_u32_e32 v8, v9, v8
	v_add_u32_e32 v8, v8, v11
	v_mul_hi_u32 v9, v4, v10
	v_mul_lo_u32 v11, v4, v8
	v_mul_hi_u32 v13, v4, v8
	v_mul_hi_u32 v12, v7, v10
	v_mul_lo_u32 v10, v7, v10
	v_mul_hi_u32 v14, v7, v8
	v_add_co_u32_e32 v9, vcc, v9, v11
	v_addc_co_u32_e32 v11, vcc, 0, v13, vcc
	v_mul_lo_u32 v8, v7, v8
	v_add_co_u32_e32 v9, vcc, v9, v10
	v_addc_co_u32_e32 v9, vcc, v11, v12, vcc
	v_addc_co_u32_e32 v10, vcc, 0, v14, vcc
	v_add_co_u32_e32 v8, vcc, v9, v8
	v_addc_co_u32_e32 v9, vcc, 0, v10, vcc
	v_add_co_u32_e32 v4, vcc, v4, v8
	v_addc_co_u32_e32 v7, vcc, v7, v9, vcc
	v_mul_lo_u32 v8, s0, v7
	v_mul_hi_u32 v9, s0, v4
	v_mul_lo_u32 v10, s1, v4
	v_mul_lo_u32 v11, s0, v4
	v_add_u32_e32 v8, v9, v8
	v_add_u32_e32 v8, v8, v10
	v_mul_lo_u32 v12, v4, v8
	v_mul_hi_u32 v13, v4, v11
	v_mul_hi_u32 v14, v4, v8
	;; [unrolled: 1-line block ×3, first 2 shown]
	v_mul_lo_u32 v11, v7, v11
	v_mul_hi_u32 v9, v7, v8
	v_add_co_u32_e32 v12, vcc, v13, v12
	v_addc_co_u32_e32 v13, vcc, 0, v14, vcc
	v_mul_lo_u32 v8, v7, v8
	v_add_co_u32_e32 v11, vcc, v12, v11
	v_addc_co_u32_e32 v10, vcc, v13, v10, vcc
	v_addc_co_u32_e32 v9, vcc, 0, v9, vcc
	v_add_co_u32_e32 v8, vcc, v10, v8
	v_addc_co_u32_e32 v9, vcc, 0, v9, vcc
	v_add_co_u32_e32 v4, vcc, v4, v8
	v_addc_co_u32_e32 v9, vcc, v7, v9, vcc
	v_mad_u64_u32 v[7:8], s[0:1], v5, v9, 0
	v_mul_hi_u32 v10, v5, v4
	v_add_co_u32_e32 v11, vcc, v10, v7
	v_addc_co_u32_e32 v12, vcc, 0, v8, vcc
	v_mad_u64_u32 v[7:8], s[0:1], v6, v4, 0
	v_mad_u64_u32 v[9:10], s[0:1], v6, v9, 0
	v_add_co_u32_e32 v4, vcc, v11, v7
	v_addc_co_u32_e32 v4, vcc, v12, v8, vcc
	v_addc_co_u32_e32 v7, vcc, 0, v10, vcc
	v_add_co_u32_e32 v4, vcc, v4, v9
	v_addc_co_u32_e32 v9, vcc, 0, v7, vcc
	v_mul_lo_u32 v10, s19, v4
	v_mul_lo_u32 v11, s18, v9
	v_mad_u64_u32 v[7:8], s[0:1], s18, v4, 0
	v_add3_u32 v8, v8, v11, v10
	v_sub_u32_e32 v10, v6, v8
	v_mov_b32_e32 v11, s19
	v_sub_co_u32_e32 v7, vcc, v5, v7
	v_subb_co_u32_e64 v10, s[0:1], v10, v11, vcc
	v_subrev_co_u32_e64 v11, s[0:1], s18, v7
	v_subbrev_co_u32_e64 v10, s[0:1], 0, v10, s[0:1]
	v_cmp_le_u32_e64 s[0:1], s19, v10
	v_cndmask_b32_e64 v12, 0, -1, s[0:1]
	v_cmp_le_u32_e64 s[0:1], s18, v11
	v_cndmask_b32_e64 v11, 0, -1, s[0:1]
	v_cmp_eq_u32_e64 s[0:1], s19, v10
	v_cndmask_b32_e64 v10, v12, v11, s[0:1]
	v_add_co_u32_e64 v11, s[0:1], 2, v4
	v_addc_co_u32_e64 v12, s[0:1], 0, v9, s[0:1]
	v_add_co_u32_e64 v13, s[0:1], 1, v4
	v_addc_co_u32_e64 v14, s[0:1], 0, v9, s[0:1]
	v_subb_co_u32_e32 v8, vcc, v6, v8, vcc
	v_cmp_ne_u32_e64 s[0:1], 0, v10
	v_cmp_le_u32_e32 vcc, s19, v8
	v_cndmask_b32_e64 v10, v14, v12, s[0:1]
	v_cndmask_b32_e64 v12, 0, -1, vcc
	v_cmp_le_u32_e32 vcc, s18, v7
	v_cndmask_b32_e64 v7, 0, -1, vcc
	v_cmp_eq_u32_e32 vcc, s19, v8
	v_cndmask_b32_e32 v7, v12, v7, vcc
	v_cmp_ne_u32_e32 vcc, 0, v7
	v_cndmask_b32_e64 v7, v13, v11, s[0:1]
	v_cndmask_b32_e32 v8, v9, v10, vcc
	v_cndmask_b32_e32 v7, v4, v7, vcc
.LBB0_4:                                ;   in Loop: Header=BB0_2 Depth=1
	s_andn2_saveexec_b64 s[0:1], s[20:21]
	s_cbranch_execz .LBB0_6
; %bb.5:                                ;   in Loop: Header=BB0_2 Depth=1
	v_cvt_f32_u32_e32 v4, s18
	s_sub_i32 s20, 0, s18
	v_rcp_iflag_f32_e32 v4, v4
	v_mul_f32_e32 v4, 0x4f7ffffe, v4
	v_cvt_u32_f32_e32 v4, v4
	v_mul_lo_u32 v7, s20, v4
	v_mul_hi_u32 v7, v4, v7
	v_add_u32_e32 v4, v4, v7
	v_mul_hi_u32 v4, v5, v4
	v_mul_lo_u32 v7, v4, s18
	v_add_u32_e32 v8, 1, v4
	v_sub_u32_e32 v7, v5, v7
	v_subrev_u32_e32 v9, s18, v7
	v_cmp_le_u32_e32 vcc, s18, v7
	v_cndmask_b32_e32 v7, v7, v9, vcc
	v_cndmask_b32_e32 v4, v4, v8, vcc
	v_add_u32_e32 v8, 1, v4
	v_cmp_le_u32_e32 vcc, s18, v7
	v_cndmask_b32_e32 v7, v4, v8, vcc
	v_mov_b32_e32 v8, v3
.LBB0_6:                                ;   in Loop: Header=BB0_2 Depth=1
	s_or_b64 exec, exec, s[0:1]
	v_mul_lo_u32 v4, v8, s18
	v_mul_lo_u32 v11, v7, s19
	v_mad_u64_u32 v[9:10], s[0:1], v7, s18, 0
	s_load_dwordx2 s[0:1], s[6:7], 0x0
	s_add_u32 s16, s16, 1
	v_add3_u32 v4, v10, v11, v4
	v_sub_co_u32_e32 v5, vcc, v5, v9
	v_subb_co_u32_e32 v4, vcc, v6, v4, vcc
	s_waitcnt lgkmcnt(0)
	v_mul_lo_u32 v4, s0, v4
	v_mul_lo_u32 v6, s1, v5
	v_mad_u64_u32 v[1:2], s[0:1], s0, v5, v[1:2]
	s_addc_u32 s17, s17, 0
	s_add_u32 s6, s6, 8
	v_add3_u32 v2, v6, v2, v4
	v_mov_b32_e32 v4, s10
	v_mov_b32_e32 v5, s11
	s_addc_u32 s7, s7, 0
	v_cmp_ge_u64_e32 vcc, s[16:17], v[4:5]
	s_add_u32 s14, s14, 8
	s_addc_u32 s15, s15, 0
	s_cbranch_vccnz .LBB0_9
; %bb.7:                                ;   in Loop: Header=BB0_2 Depth=1
	v_mov_b32_e32 v5, v7
	v_mov_b32_e32 v6, v8
	s_branch .LBB0_2
.LBB0_8:
	v_mov_b32_e32 v8, v6
	v_mov_b32_e32 v7, v5
.LBB0_9:
	s_lshl_b64 s[0:1], s[10:11], 3
	s_add_u32 s0, s12, s0
	s_addc_u32 s1, s13, s1
	s_load_dwordx2 s[6:7], s[0:1], 0x0
	s_load_dwordx2 s[10:11], s[4:5], 0x20
	s_waitcnt lgkmcnt(0)
	v_mad_u64_u32 v[3:4], s[0:1], s6, v7, v[1:2]
	s_mov_b32 s0, 0x4444445
	v_mul_hi_u32 v1, v0, s0
	v_mul_lo_u32 v5, s6, v8
	v_mul_lo_u32 v6, s7, v7
	v_cmp_gt_u64_e64 s[0:1], s[10:11], v[7:8]
	v_mul_u32_u24_e32 v1, 60, v1
	v_cmp_le_u64_e32 vcc, s[10:11], v[7:8]
	v_sub_u32_e32 v0, v0, v1
	v_add3_u32 v4, v6, v4, v5
	v_add_u32_e32 v2, 60, v0
                                        ; implicit-def: $vgpr7
                                        ; implicit-def: $vgpr6
	s_and_saveexec_b64 s[4:5], vcc
	s_xor_b64 s[4:5], exec, s[4:5]
; %bb.10:
	v_add_u32_e32 v2, 60, v0
	v_add_u32_e32 v7, 0x78, v0
	;; [unrolled: 1-line block ×3, first 2 shown]
; %bb.11:
	s_or_saveexec_b64 s[4:5], s[4:5]
	v_lshlrev_b64 v[4:5], 2, v[3:4]
	v_lshl_add_u32 v28, v0, 2, 0
	s_xor_b64 exec, exec, s[4:5]
	s_cbranch_execz .LBB0_13
; %bb.12:
	v_mov_b32_e32 v1, 0
	v_mov_b32_e32 v3, s3
	v_add_co_u32_e32 v10, vcc, s2, v4
	v_lshlrev_b64 v[6:7], 2, v[0:1]
	v_addc_co_u32_e32 v3, vcc, v3, v5, vcc
	v_or_b32_e32 v8, 0x780, v0
	v_mov_b32_e32 v9, v1
	v_add_co_u32_e32 v6, vcc, v10, v6
	v_lshlrev_b64 v[8:9], 2, v[8:9]
	v_addc_co_u32_e32 v7, vcc, v3, v7, vcc
	v_add_co_u32_e32 v8, vcc, v10, v8
	v_addc_co_u32_e32 v9, vcc, v3, v9, vcc
	s_movk_i32 s6, 0x1000
	global_load_dword v14, v[6:7], off offset:1200
	global_load_dword v15, v[6:7], off offset:1440
	;; [unrolled: 1-line block ×11, first 2 shown]
	global_load_dword v23, v[6:7], off
	global_load_dword v24, v[6:7], off offset:240
	global_load_dword v25, v[6:7], off offset:480
	;; [unrolled: 1-line block ×4, first 2 shown]
	v_add_co_u32_e32 v10, vcc, s6, v6
	v_addc_co_u32_e32 v11, vcc, 0, v7, vcc
	v_add_co_u32_e32 v12, vcc, 0x2000, v6
	v_addc_co_u32_e32 v13, vcc, 0, v7, vcc
	global_load_dword v29, v[6:7], off offset:3840
	global_load_dword v30, v[6:7], off offset:4080
	;; [unrolled: 1-line block ×15, first 2 shown]
                                        ; kill: killed $vgpr6 killed $vgpr7
	global_load_dword v44, v[10:11], off offset:3344
	global_load_dword v45, v[10:11], off offset:3824
	global_load_dword v46, v[8:9], off
	global_load_dword v47, v[12:13], off offset:208
	global_load_dword v48, v[10:11], off offset:4064
	v_add_u32_e32 v6, 0x200, v28
	v_add_u32_e32 v8, 0x400, v28
	;; [unrolled: 1-line block ×9, first 2 shown]
	s_waitcnt vmcnt(21)
	ds_write2_b32 v6, v26, v14 offset0:112 offset1:172
	ds_write2_b32 v8, v15, v16 offset0:104 offset1:164
	;; [unrolled: 1-line block ×4, first 2 shown]
	ds_write2_b32 v28, v23, v24 offset1:60
	s_waitcnt vmcnt(20)
	ds_write2_b32 v28, v25, v27 offset0:120 offset1:180
	ds_write2_b32 v11, v19, v20 offset0:80 offset1:140
	;; [unrolled: 1-line block ×3, first 2 shown]
	s_waitcnt vmcnt(18)
	ds_write2_b32 v12, v29, v30 offset0:192 offset1:252
	s_waitcnt vmcnt(16)
	ds_write2_b32 v13, v31, v32 offset0:56 offset1:116
	;; [unrolled: 2-line block ×5, first 2 shown]
	v_add_u32_e32 v1, 0x1800, v28
	s_waitcnt vmcnt(8)
	ds_write2_b32 v1, v39, v40 offset0:24 offset1:84
	s_waitcnt vmcnt(6)
	ds_write2_b32 v1, v41, v42 offset0:144 offset1:204
	v_add_u32_e32 v1, 0x1c00, v28
	v_add_u32_e32 v6, 0xb4, v0
	s_waitcnt vmcnt(4)
	ds_write2_b32 v1, v43, v44 offset0:8 offset1:68
	s_waitcnt vmcnt(2)
	ds_write2_b32 v1, v46, v45 offset0:128 offset1:188
	v_add_u32_e32 v1, 0x1e00, v28
	s_waitcnt vmcnt(0)
	ds_write2_b32 v1, v48, v47 offset0:120 offset1:180
.LBB0_13:
	s_or_b64 exec, exec, s[4:5]
	v_add_u32_e32 v32, 0x400, v28
	s_waitcnt lgkmcnt(0)
	; wave barrier
	s_waitcnt lgkmcnt(0)
	v_add_u32_e32 v1, 0xc00, v28
	v_add_u32_e32 v3, 0x1400, v28
	;; [unrolled: 1-line block ×3, first 2 shown]
	ds_read2_b32 v[37:38], v32 offset0:176 offset1:236
	ds_read2_b32 v[39:40], v3 offset0:16 offset1:76
	;; [unrolled: 1-line block ×4, first 2 shown]
	v_add_u32_e32 v35, 0x1600, v28
	v_add_u32_e32 v30, 0x800, v28
	;; [unrolled: 1-line block ×4, first 2 shown]
	ds_read2_b32 v[45:46], v35 offset0:104 offset1:164
	ds_read2_b32 v[47:48], v33 offset0:152 offset1:212
	;; [unrolled: 1-line block ×4, first 2 shown]
	v_add_u32_e32 v31, 0x200, v28
	ds_read2_b32 v[53:54], v31 offset0:88 offset1:148
	s_waitcnt lgkmcnt(6)
	v_sub_f16_e32 v8, v41, v39
	s_waitcnt lgkmcnt(5)
	v_sub_f16_e32 v9, v37, v43
	v_add_f16_e32 v57, v9, v8
	v_sub_f16_sdwa v8, v37, v43 dst_sel:DWORD dst_unused:UNUSED_PAD src0_sel:WORD_1 src1_sel:WORD_1
	v_sub_f16_sdwa v9, v41, v39 dst_sel:DWORD dst_unused:UNUSED_PAD src0_sel:WORD_1 src1_sel:WORD_1
	v_add_f16_e32 v58, v8, v9
	s_waitcnt lgkmcnt(3)
	v_sub_f16_e32 v8, v47, v45
	s_waitcnt lgkmcnt(1)
	v_sub_f16_e32 v9, v49, v51
	v_add_f16_e32 v59, v9, v8
	v_sub_f16_sdwa v8, v49, v51 dst_sel:DWORD dst_unused:UNUSED_PAD src0_sel:WORD_1 src1_sel:WORD_1
	v_sub_f16_sdwa v9, v47, v45 dst_sel:DWORD dst_unused:UNUSED_PAD src0_sel:WORD_1 src1_sel:WORD_1
	v_add_f16_e32 v60, v8, v9
	v_add_f16_sdwa v9, v51, v45 dst_sel:DWORD dst_unused:UNUSED_PAD src0_sel:WORD_1 src1_sel:WORD_1
	s_waitcnt lgkmcnt(0)
	v_lshrrev_b32_e32 v64, 16, v53
	s_movk_i32 s12, 0x3b9c
	v_add_f16_e32 v8, v51, v45
	v_fma_f16 v65, v9, -0.5, v64
	v_sub_f16_e32 v66, v49, v47
	s_mov_b32 s6, 0xbb9c
	s_movk_i32 s13, 0x38b4
	v_fma_f16 v61, v8, -0.5, v53
	v_sub_f16_sdwa v62, v49, v47 dst_sel:DWORD dst_unused:UNUSED_PAD src0_sel:WORD_1 src1_sel:WORD_1
	v_fma_f16 v9, v66, s12, v65
	v_sub_f16_e32 v67, v51, v45
	s_mov_b32 s7, 0xb8b4
	s_movk_i32 s10, 0x34f2
	v_fma_f16 v8, v62, s6, v61
	v_sub_f16_sdwa v63, v51, v45 dst_sel:DWORD dst_unused:UNUSED_PAD src0_sel:WORD_1 src1_sel:WORD_1
	v_fma_f16 v9, v67, s13, v9
	ds_read2_b32 v[55:56], v28 offset1:60
	v_fma_f16 v8, v63, s7, v8
	v_fma_f16 v9, v60, s10, v9
	s_movk_i32 s11, 0x3a79
	v_fma_f16 v8, v59, s10, v8
	v_mul_f16_e32 v10, 0xb8b4, v9
	v_fma_f16 v68, v8, s11, v10
	v_mul_f16_e32 v8, 0x38b4, v8
	v_fma_f16 v69, v9, s11, v8
	v_add_f16_e32 v8, v43, v39
	s_waitcnt lgkmcnt(0)
	v_fma_f16 v70, v8, -0.5, v55
	v_sub_f16_sdwa v71, v37, v41 dst_sel:DWORD dst_unused:UNUSED_PAD src0_sel:WORD_1 src1_sel:WORD_1
	v_fma_f16 v8, v71, s6, v70
	v_sub_f16_sdwa v72, v43, v39 dst_sel:DWORD dst_unused:UNUSED_PAD src0_sel:WORD_1 src1_sel:WORD_1
	v_fma_f16 v8, v72, s7, v8
	v_fma_f16 v73, v57, s10, v8
	v_add_f16_sdwa v8, v43, v39 dst_sel:DWORD dst_unused:UNUSED_PAD src0_sel:WORD_1 src1_sel:WORD_1
	v_lshrrev_b32_e32 v74, 16, v55
	v_fma_f16 v75, v8, -0.5, v74
	v_sub_f16_e32 v76, v37, v41
	v_fma_f16 v8, v76, s12, v75
	v_sub_f16_e32 v77, v43, v39
	v_fma_f16 v8, v77, s13, v8
	v_fma_f16 v78, v58, s10, v8
	v_add_f16_e32 v8, v73, v68
	v_add_f16_e32 v9, v78, v69
	v_pack_b32_f16 v79, v8, v9
	v_mul_u32_u24_e32 v8, 10, v0
	v_lshl_add_u32 v80, v8, 2, 0
	v_pk_add_f16 v8, v55, v37
	v_pk_add_f16 v8, v8, v43
	;; [unrolled: 1-line block ×8, first 2 shown]
	v_add_u32_e32 v8, 0x2000, v28
	v_pk_add_f16 v83, v81, v82
	v_add_u32_e32 v36, 0xe00, v28
	ds_read2_b32 v[8:9], v8 offset0:16 offset1:76
	ds_read2_b32 v[20:21], v28 offset0:120 offset1:180
	;; [unrolled: 1-line block ×4, first 2 shown]
	ds_read2_b32 v[26:27], v1 offset1:60
	ds_read2_b32 v[14:15], v36 offset0:88 offset1:148
	ds_read2_b32 v[10:11], v34 offset0:176 offset1:236
	ds_read2_b32 v[16:17], v3 offset0:136 offset1:196
	ds_read2_b32 v[12:13], v29 offset0:96 offset1:156
	ds_read2_b32 v[18:19], v33 offset0:56 offset1:116
	s_waitcnt lgkmcnt(0)
	; wave barrier
	s_waitcnt lgkmcnt(0)
	ds_write2_b32 v80, v83, v79 offset1:1
	v_sub_f16_e32 v79, v39, v41
	v_sub_f16_e32 v83, v43, v37
	v_add_f16_e32 v79, v83, v79
	v_add_f16_e32 v83, v37, v41
	v_fma_f16 v55, v83, -0.5, v55
	v_fma_f16 v83, v72, s12, v55
	v_fma_f16 v55, v72, s6, v55
	;; [unrolled: 1-line block ×6, first 2 shown]
	v_add_f16_sdwa v79, v37, v41 dst_sel:DWORD dst_unused:UNUSED_PAD src0_sel:WORD_1 src1_sel:WORD_1
	v_fma_f16 v74, v79, -0.5, v74
	v_sub_f16_sdwa v37, v43, v37 dst_sel:DWORD dst_unused:UNUSED_PAD src0_sel:WORD_1 src1_sel:WORD_1
	v_sub_f16_sdwa v39, v39, v41 dst_sel:DWORD dst_unused:UNUSED_PAD src0_sel:WORD_1 src1_sel:WORD_1
	v_add_f16_e32 v37, v37, v39
	v_fma_f16 v39, v77, s6, v74
	v_fma_f16 v41, v77, s12, v74
	;; [unrolled: 1-line block ×6, first 2 shown]
	v_sub_f16_e32 v41, v45, v47
	v_sub_f16_e32 v43, v51, v49
	v_add_f16_e32 v41, v43, v41
	v_add_f16_e32 v43, v49, v47
	v_fma_f16 v43, v43, -0.5, v53
	v_fma_f16 v53, v63, s12, v43
	v_fma_f16 v43, v63, s6, v43
	v_fma_f16 v53, v62, s7, v53
	v_fma_f16 v43, v62, s13, v43
	v_fma_f16 v53, v41, s10, v53
	v_fma_f16 v41, v41, s10, v43
	v_add_f16_sdwa v43, v49, v47 dst_sel:DWORD dst_unused:UNUSED_PAD src0_sel:WORD_1 src1_sel:WORD_1
	v_fma_f16 v43, v43, -0.5, v64
	v_sub_f16_sdwa v49, v51, v49 dst_sel:DWORD dst_unused:UNUSED_PAD src0_sel:WORD_1 src1_sel:WORD_1
	v_sub_f16_sdwa v45, v45, v47 dst_sel:DWORD dst_unused:UNUSED_PAD src0_sel:WORD_1 src1_sel:WORD_1
	v_fma_f16 v47, v67, s6, v43
	v_fma_f16 v43, v67, s12, v43
	v_add_f16_e32 v45, v49, v45
	v_fma_f16 v43, v66, s7, v43
	v_fma_f16 v47, v66, s13, v47
	;; [unrolled: 1-line block ×4, first 2 shown]
	s_mov_b32 s14, 0xb4f2
	v_mul_f16_e32 v49, 0xbb9c, v43
	v_mul_f16_e32 v43, 0xb4f2, v43
	;; [unrolled: 1-line block ×4, first 2 shown]
	v_fma_f16 v49, v41, s14, v49
	v_fma_f16 v41, v41, s12, v43
	;; [unrolled: 1-line block ×4, first 2 shown]
	v_add_f16_e32 v43, v55, v49
	v_add_f16_e32 v51, v37, v41
	v_pack_b32_f16 v43, v43, v51
	v_add_f16_e32 v51, v83, v45
	v_add_f16_e32 v53, v39, v47
	v_pack_b32_f16 v51, v51, v53
	ds_write2_b32 v80, v51, v43 offset0:2 offset1:3
	v_fma_f16 v43, v71, s12, v70
	v_fma_f16 v43, v72, s13, v43
	;; [unrolled: 1-line block ×12, first 2 shown]
	s_mov_b32 s15, 0xba79
	v_mul_f16_e32 v58, 0xb8b4, v57
	v_mul_f16_e32 v57, 0xba79, v57
	v_fma_f16 v58, v53, s15, v58
	v_fma_f16 v53, v53, s13, v57
	v_add_f16_e32 v59, v43, v58
	v_add_f16_e32 v60, v51, v53
	v_pk_add_f16 v57, v81, v82 neg_lo:[0,1] neg_hi:[0,1]
	v_pack_b32_f16 v59, v59, v60
	ds_write2_b32 v80, v59, v57 offset0:4 offset1:5
	v_sub_f16_e32 v57, v73, v68
	v_sub_f16_e32 v45, v83, v45
	;; [unrolled: 1-line block ×4, first 2 shown]
	v_pack_b32_f16 v39, v45, v39
	v_pack_b32_f16 v45, v57, v59
	ds_write2_b32 v80, v45, v39 offset0:6 offset1:7
	v_sub_f16_e32 v39, v55, v49
	v_sub_f16_e32 v43, v43, v58
	;; [unrolled: 1-line block ×4, first 2 shown]
	v_pack_b32_f16 v41, v43, v41
	v_pack_b32_f16 v37, v39, v37
	ds_write2_b32 v80, v37, v41 offset0:8 offset1:9
	v_pk_add_f16 v37, v56, v38
	v_pk_add_f16 v37, v37, v44
	;; [unrolled: 1-line block ×3, first 2 shown]
	v_add_f16_e32 v39, v44, v40
	v_sub_f16_sdwa v41, v44, v40 dst_sel:DWORD dst_unused:UNUSED_PAD src0_sel:WORD_1 src1_sel:WORD_1
	v_sub_f16_e32 v43, v38, v44
	v_sub_f16_e32 v45, v44, v38
	v_add_f16_sdwa v47, v44, v40 dst_sel:DWORD dst_unused:UNUSED_PAD src0_sel:WORD_1 src1_sel:WORD_1
	v_sub_f16_e32 v49, v44, v40
	v_sub_f16_sdwa v51, v38, v44 dst_sel:DWORD dst_unused:UNUSED_PAD src0_sel:WORD_1 src1_sel:WORD_1
	v_sub_f16_sdwa v44, v44, v38 dst_sel:DWORD dst_unused:UNUSED_PAD src0_sel:WORD_1 src1_sel:WORD_1
	;; [unrolled: 1-line block ×3, first 2 shown]
	v_add_f16_e32 v55, v38, v42
	v_sub_f16_e32 v57, v38, v42
	v_add_f16_sdwa v38, v38, v42 dst_sel:DWORD dst_unused:UNUSED_PAD src0_sel:WORD_1 src1_sel:WORD_1
	v_sub_f16_e32 v58, v42, v40
	v_sub_f16_e32 v59, v40, v42
	v_sub_f16_sdwa v60, v42, v40 dst_sel:DWORD dst_unused:UNUSED_PAD src0_sel:WORD_1 src1_sel:WORD_1
	v_sub_f16_sdwa v40, v40, v42 dst_sel:DWORD dst_unused:UNUSED_PAD src0_sel:WORD_1 src1_sel:WORD_1
	v_pk_add_f16 v37, v37, v42
	v_pk_add_f16 v42, v54, v50
	v_add_f16_e32 v61, v52, v46
	v_add_f16_e32 v69, v50, v48
	v_pk_add_f16 v42, v42, v52
	v_add_f16_sdwa v65, v52, v46 dst_sel:DWORD dst_unused:UNUSED_PAD src0_sel:WORD_1 src1_sel:WORD_1
	v_add_f16_e32 v43, v43, v58
	v_add_f16_e32 v51, v51, v60
	v_fma_f16 v58, v61, -0.5, v54
	v_fma_f16 v60, v69, -0.5, v54
	v_lshrrev_b32_e32 v54, 16, v54
	v_sub_f16_sdwa v67, v50, v52 dst_sel:DWORD dst_unused:UNUSED_PAD src0_sel:WORD_1 src1_sel:WORD_1
	v_sub_f16_e32 v70, v50, v48
	v_pk_add_f16 v42, v42, v46
	v_sub_f16_sdwa v73, v48, v46 dst_sel:DWORD dst_unused:UNUSED_PAD src0_sel:WORD_1 src1_sel:WORD_1
	v_fma_f16 v65, v65, -0.5, v54
	v_sub_f16_sdwa v62, v52, v46 dst_sel:DWORD dst_unused:UNUSED_PAD src0_sel:WORD_1 src1_sel:WORD_1
	v_sub_f16_e32 v63, v50, v52
	v_sub_f16_e32 v64, v52, v50
	;; [unrolled: 1-line block ×3, first 2 shown]
	v_sub_f16_sdwa v52, v52, v50 dst_sel:DWORD dst_unused:UNUSED_PAD src0_sel:WORD_1 src1_sel:WORD_1
	v_sub_f16_sdwa v68, v50, v48 dst_sel:DWORD dst_unused:UNUSED_PAD src0_sel:WORD_1 src1_sel:WORD_1
	v_add_f16_sdwa v50, v50, v48 dst_sel:DWORD dst_unused:UNUSED_PAD src0_sel:WORD_1 src1_sel:WORD_1
	v_sub_f16_e32 v71, v48, v46
	v_sub_f16_e32 v72, v46, v48
	v_sub_f16_sdwa v46, v46, v48 dst_sel:DWORD dst_unused:UNUSED_PAD src0_sel:WORD_1 src1_sel:WORD_1
	v_pk_add_f16 v42, v42, v48
	v_fma_f16 v48, v55, -0.5, v56
	v_lshrrev_b32_e32 v55, 16, v56
	v_add_f16_e32 v61, v67, v73
	v_fma_f16 v67, v70, s12, v65
	v_fma_f16 v39, v39, -0.5, v56
	v_add_f16_e32 v56, v63, v71
	v_fma_f16 v63, v68, s6, v58
	v_fma_f16 v67, v66, s13, v67
	v_add_f16_e32 v45, v45, v59
	v_fma_f16 v59, v41, s12, v48
	v_fma_f16 v48, v41, s6, v48
	v_fma_f16 v38, v38, -0.5, v55
	v_fma_f16 v50, v50, -0.5, v54
	v_fma_f16 v63, v62, s7, v63
	v_fma_f16 v67, v61, s10, v67
	;; [unrolled: 1-line block ×4, first 2 shown]
	v_add_f16_e32 v40, v44, v40
	v_fma_f16 v44, v49, s6, v38
	v_fma_f16 v38, v49, s12, v38
	v_add_f16_e32 v46, v52, v46
	v_fma_f16 v52, v66, s6, v50
	v_fma_f16 v63, v56, s10, v63
	v_mul_f16_e32 v69, 0xb8b4, v67
	v_fma_f16 v59, v45, s10, v59
	v_fma_f16 v45, v45, s10, v48
	;; [unrolled: 1-line block ×8, first 2 shown]
	v_mul_f16_e32 v63, 0x38b4, v63
	v_fma_f16 v47, v47, -0.5, v55
	v_fma_f16 v44, v40, s10, v44
	v_fma_f16 v38, v40, s10, v38
	v_add_f16_e32 v40, v64, v72
	v_fma_f16 v48, v68, s7, v48
	v_fma_f16 v55, v62, s6, v60
	;; [unrolled: 1-line block ×10, first 2 shown]
	v_mul_f16_e32 v50, 0xbb9c, v52
	v_mul_f16_e32 v52, 0x34f2, v52
	v_fma_f16 v67, v41, s7, v67
	v_fma_f16 v71, v49, s13, v71
	;; [unrolled: 1-line block ×5, first 2 shown]
	v_mul_f16_e32 v52, 0xbb9c, v46
	v_mul_f16_e32 v46, 0xb4f2, v46
	v_fma_f16 v67, v43, s10, v67
	v_fma_f16 v71, v51, s10, v71
	;; [unrolled: 1-line block ×4, first 2 shown]
	v_add_f16_e32 v73, v67, v69
	v_add_f16_e32 v74, v71, v63
	;; [unrolled: 1-line block ×4, first 2 shown]
	v_pack_b32_f16 v73, v73, v74
	v_mul_i32_i24_e32 v74, 10, v2
	v_pack_b32_f16 v46, v46, v54
	v_add_f16_e32 v54, v59, v50
	v_add_f16_e32 v55, v44, v48
	v_lshl_add_u32 v74, v74, 2, 0
	v_pack_b32_f16 v54, v54, v55
	v_fma_f16 v39, v53, s12, v39
	ds_write2_b32 v74, v54, v46 offset0:2 offset1:3
	v_fma_f16 v39, v41, s13, v39
	v_fma_f16 v46, v70, s6, v65
	;; [unrolled: 1-line block ×10, first 2 shown]
	v_mul_f16_e32 v47, 0xb8b4, v46
	v_mul_f16_e32 v46, 0xba79, v46
	v_fma_f16 v41, v51, s10, v41
	v_fma_f16 v47, v43, s15, v47
	;; [unrolled: 1-line block ×3, first 2 shown]
	v_pk_add_f16 v75, v37, v42
	v_pk_add_f16 v37, v37, v42 neg_lo:[0,1] neg_hi:[0,1]
	v_add_f16_e32 v42, v39, v47
	v_add_f16_e32 v46, v41, v43
	v_pack_b32_f16 v42, v42, v46
	ds_write2_b32 v74, v42, v37 offset0:4 offset1:5
	v_sub_f16_e32 v37, v67, v69
	v_sub_f16_e32 v42, v59, v50
	;; [unrolled: 1-line block ×4, first 2 shown]
	v_pack_b32_f16 v42, v42, v44
	v_pack_b32_f16 v37, v37, v46
	ds_write2_b32 v74, v37, v42 offset0:6 offset1:7
	v_sub_f16_e32 v37, v45, v52
	v_sub_f16_e32 v39, v39, v47
	;; [unrolled: 1-line block ×4, first 2 shown]
	v_pack_b32_f16 v39, v39, v40
	v_pack_b32_f16 v37, v37, v38
	ds_write2_b32 v74, v37, v39 offset0:8 offset1:9
	v_sub_f16_e32 v37, v18, v16
	v_sub_f16_e32 v38, v22, v14
	v_add_f16_e32 v37, v38, v37
	v_sub_f16_sdwa v38, v22, v14 dst_sel:DWORD dst_unused:UNUSED_PAD src0_sel:WORD_1 src1_sel:WORD_1
	v_sub_f16_sdwa v39, v18, v16 dst_sel:DWORD dst_unused:UNUSED_PAD src0_sel:WORD_1 src1_sel:WORD_1
	v_add_f16_e32 v38, v38, v39
	v_sub_f16_e32 v39, v8, v12
	v_sub_f16_e32 v40, v26, v10
	v_add_f16_e32 v39, v40, v39
	v_sub_f16_sdwa v40, v26, v10 dst_sel:DWORD dst_unused:UNUSED_PAD src0_sel:WORD_1 src1_sel:WORD_1
	v_sub_f16_sdwa v41, v8, v12 dst_sel:DWORD dst_unused:UNUSED_PAD src0_sel:WORD_1 src1_sel:WORD_1
	v_add_f16_sdwa v45, v10, v12 dst_sel:DWORD dst_unused:UNUSED_PAD src0_sel:WORD_1 src1_sel:WORD_1
	v_lshrrev_b32_e32 v46, 16, v24
	v_add_f16_e32 v40, v40, v41
	v_add_f16_e32 v41, v10, v12
	v_fma_f16 v45, v45, -0.5, v46
	v_sub_f16_e32 v47, v26, v8
	v_fma_f16 v41, v41, -0.5, v24
	v_sub_f16_sdwa v42, v26, v8 dst_sel:DWORD dst_unused:UNUSED_PAD src0_sel:WORD_1 src1_sel:WORD_1
	v_fma_f16 v48, v47, s12, v45
	v_sub_f16_e32 v49, v10, v12
	v_fma_f16 v43, v42, s6, v41
	v_sub_f16_sdwa v44, v10, v12 dst_sel:DWORD dst_unused:UNUSED_PAD src0_sel:WORD_1 src1_sel:WORD_1
	v_fma_f16 v48, v49, s13, v48
	v_fma_f16 v43, v44, s7, v43
	;; [unrolled: 1-line block ×4, first 2 shown]
	v_mul_f16_e32 v50, 0xb8b4, v48
	v_fma_f16 v50, v43, s11, v50
	v_mul_f16_e32 v43, 0x38b4, v43
	v_fma_f16 v43, v48, s11, v43
	v_add_f16_e32 v48, v14, v16
	v_add_f16_sdwa v54, v14, v16 dst_sel:DWORD dst_unused:UNUSED_PAD src0_sel:WORD_1 src1_sel:WORD_1
	v_lshrrev_b32_e32 v55, 16, v20
	v_fma_f16 v48, v48, -0.5, v20
	v_sub_f16_sdwa v51, v22, v18 dst_sel:DWORD dst_unused:UNUSED_PAD src0_sel:WORD_1 src1_sel:WORD_1
	v_fma_f16 v54, v54, -0.5, v55
	v_sub_f16_e32 v56, v22, v18
	v_fma_f16 v52, v51, s6, v48
	v_sub_f16_sdwa v53, v14, v16 dst_sel:DWORD dst_unused:UNUSED_PAD src0_sel:WORD_1 src1_sel:WORD_1
	v_fma_f16 v57, v56, s12, v54
	v_sub_f16_e32 v58, v14, v16
	v_fma_f16 v52, v53, s7, v52
	v_fma_f16 v57, v58, s13, v57
	v_pk_add_f16 v61, v20, v22
	v_pk_add_f16 v62, v24, v26
	v_fma_f16 v52, v37, s10, v52
	v_fma_f16 v57, v38, s10, v57
	v_pk_add_f16 v61, v61, v14
	v_pk_add_f16 v62, v62, v10
	v_add_f16_e32 v59, v52, v50
	v_add_f16_e32 v60, v57, v43
	v_pk_add_f16 v61, v61, v16
	v_pk_add_f16 v62, v62, v12
	v_pack_b32_f16 v59, v59, v60
	v_mul_i32_i24_e32 v60, 10, v7
	v_pk_add_f16 v61, v61, v18
	v_pk_add_f16 v62, v62, v8
	v_lshl_add_u32 v60, v60, 2, 0
	v_pk_add_f16 v63, v61, v62
	ds_write2_b32 v74, v75, v73 offset1:1
	ds_write2_b32 v60, v63, v59 offset1:1
	v_sub_f16_e32 v59, v16, v18
	v_sub_f16_e32 v63, v14, v22
	v_add_f16_e32 v59, v63, v59
	v_add_f16_e32 v63, v22, v18
	v_fma_f16 v20, v63, -0.5, v20
	v_fma_f16 v63, v53, s12, v20
	v_fma_f16 v20, v53, s6, v20
	;; [unrolled: 1-line block ×6, first 2 shown]
	v_add_f16_sdwa v59, v22, v18 dst_sel:DWORD dst_unused:UNUSED_PAD src0_sel:WORD_1 src1_sel:WORD_1
	v_fma_f16 v55, v59, -0.5, v55
	v_sub_f16_sdwa v14, v14, v22 dst_sel:DWORD dst_unused:UNUSED_PAD src0_sel:WORD_1 src1_sel:WORD_1
	v_sub_f16_sdwa v16, v16, v18 dst_sel:DWORD dst_unused:UNUSED_PAD src0_sel:WORD_1 src1_sel:WORD_1
	v_add_f16_e32 v14, v14, v16
	v_fma_f16 v16, v58, s6, v55
	v_fma_f16 v18, v58, s12, v55
	;; [unrolled: 1-line block ×6, first 2 shown]
	v_sub_f16_e32 v18, v12, v8
	v_sub_f16_e32 v22, v10, v26
	v_add_f16_e32 v18, v22, v18
	v_add_f16_e32 v22, v26, v8
	v_fma_f16 v22, v22, -0.5, v24
	v_fma_f16 v24, v44, s12, v22
	v_fma_f16 v22, v44, s6, v22
	;; [unrolled: 1-line block ×6, first 2 shown]
	v_add_f16_sdwa v22, v26, v8 dst_sel:DWORD dst_unused:UNUSED_PAD src0_sel:WORD_1 src1_sel:WORD_1
	v_fma_f16 v22, v22, -0.5, v46
	v_sub_f16_sdwa v10, v10, v26 dst_sel:DWORD dst_unused:UNUSED_PAD src0_sel:WORD_1 src1_sel:WORD_1
	v_sub_f16_sdwa v8, v12, v8 dst_sel:DWORD dst_unused:UNUSED_PAD src0_sel:WORD_1 src1_sel:WORD_1
	v_add_f16_e32 v8, v10, v8
	v_fma_f16 v10, v49, s6, v22
	v_fma_f16 v12, v49, s12, v22
	;; [unrolled: 1-line block ×6, first 2 shown]
	v_mul_f16_e32 v22, 0xbb9c, v8
	v_mul_f16_e32 v8, 0xb4f2, v8
	;; [unrolled: 1-line block ×4, first 2 shown]
	v_fma_f16 v22, v18, s14, v22
	v_fma_f16 v8, v18, s12, v8
	;; [unrolled: 1-line block ×4, first 2 shown]
	v_add_f16_e32 v18, v20, v22
	v_add_f16_e32 v24, v14, v8
	v_pack_b32_f16 v18, v18, v24
	v_add_f16_e32 v24, v63, v12
	v_add_f16_e32 v26, v16, v10
	v_pack_b32_f16 v24, v24, v26
	ds_write2_b32 v60, v24, v18 offset0:2 offset1:3
	v_fma_f16 v18, v51, s12, v48
	v_fma_f16 v18, v53, s13, v18
	;; [unrolled: 1-line block ×12, first 2 shown]
	v_mul_f16_e32 v38, 0xb8b4, v37
	v_mul_f16_e32 v37, 0xba79, v37
	v_fma_f16 v38, v26, s15, v38
	v_fma_f16 v26, v26, s13, v37
	v_add_f16_e32 v39, v18, v38
	v_add_f16_e32 v40, v24, v26
	v_pk_add_f16 v37, v61, v62 neg_lo:[0,1] neg_hi:[0,1]
	v_pack_b32_f16 v39, v39, v40
	ds_write2_b32 v60, v39, v37 offset0:4 offset1:5
	v_sub_f16_e32 v37, v52, v50
	v_sub_f16_e32 v12, v63, v12
	;; [unrolled: 1-line block ×4, first 2 shown]
	v_pack_b32_f16 v10, v12, v10
	v_pack_b32_f16 v12, v37, v39
	ds_write2_b32 v60, v12, v10 offset0:6 offset1:7
	v_sub_f16_e32 v10, v20, v22
	v_sub_f16_e32 v12, v18, v38
	v_sub_f16_e32 v8, v14, v8
	v_sub_f16_e32 v14, v24, v26
	v_pack_b32_f16 v12, v12, v14
	v_pack_b32_f16 v8, v10, v8
	v_cmp_gt_u32_e32 vcc, 36, v0
	ds_write2_b32 v60, v8, v12 offset0:8 offset1:9
	s_and_saveexec_b64 s[4:5], vcc
	s_cbranch_execz .LBB0_15
; %bb.14:
	v_sub_f16_sdwa v8, v23, v15 dst_sel:DWORD dst_unused:UNUSED_PAD src0_sel:WORD_1 src1_sel:WORD_1
	v_sub_f16_sdwa v10, v19, v17 dst_sel:DWORD dst_unused:UNUSED_PAD src0_sel:WORD_1 src1_sel:WORD_1
	;; [unrolled: 1-line block ×4, first 2 shown]
	v_add_f16_e32 v8, v8, v10
	v_add_f16_sdwa v10, v15, v17 dst_sel:DWORD dst_unused:UNUSED_PAD src0_sel:WORD_1 src1_sel:WORD_1
	v_lshrrev_b32_e32 v12, 16, v21
	v_add_f16_e32 v46, v46, v47
	v_add_f16_sdwa v47, v23, v19 dst_sel:DWORD dst_unused:UNUSED_PAD src0_sel:WORD_1 src1_sel:WORD_1
	v_fma_f16 v10, v10, -0.5, v12
	v_sub_f16_e32 v18, v15, v17
	v_fma_f16 v12, v47, -0.5, v12
	v_sub_f16_e32 v48, v13, v9
	v_sub_f16_e32 v49, v11, v27
	;; [unrolled: 1-line block ×5, first 2 shown]
	v_fma_f16 v47, v18, s12, v12
	v_add_f16_e32 v48, v49, v48
	v_add_f16_e32 v49, v27, v9
	v_fma_f16 v12, v18, s6, v12
	v_fma_f16 v16, v14, s6, v10
	v_add_f16_e32 v20, v22, v20
	v_add_f16_e32 v22, v11, v13
	v_sub_f16_sdwa v37, v11, v13 dst_sel:DWORD dst_unused:UNUSED_PAD src0_sel:WORD_1 src1_sel:WORD_1
	v_sub_f16_sdwa v38, v27, v11 dst_sel:DWORD dst_unused:UNUSED_PAD src0_sel:WORD_1 src1_sel:WORD_1
	;; [unrolled: 1-line block ×3, first 2 shown]
	v_fma_f16 v47, v14, s7, v47
	v_fma_f16 v49, v49, -0.5, v25
	v_fma_f16 v12, v14, s13, v12
	v_fma_f16 v10, v14, s12, v10
	;; [unrolled: 1-line block ×3, first 2 shown]
	v_fma_f16 v22, v22, -0.5, v25
	v_sub_f16_sdwa v24, v27, v9 dst_sel:DWORD dst_unused:UNUSED_PAD src0_sel:WORD_1 src1_sel:WORD_1
	v_add_f16_e32 v38, v38, v39
	v_add_f16_sdwa v39, v11, v13 dst_sel:DWORD dst_unused:UNUSED_PAD src0_sel:WORD_1 src1_sel:WORD_1
	v_lshrrev_b32_e32 v40, 16, v25
	v_fma_f16 v47, v46, s10, v47
	v_fma_f16 v50, v37, s6, v49
	v_sub_f16_sdwa v51, v11, v27 dst_sel:DWORD dst_unused:UNUSED_PAD src0_sel:WORD_1 src1_sel:WORD_1
	v_sub_f16_sdwa v52, v13, v9 dst_sel:DWORD dst_unused:UNUSED_PAD src0_sel:WORD_1 src1_sel:WORD_1
	v_fma_f16 v12, v46, s10, v12
	v_fma_f16 v46, v37, s12, v49
	;; [unrolled: 1-line block ×5, first 2 shown]
	v_fma_f16 v39, v39, -0.5, v40
	v_sub_f16_e32 v41, v27, v9
	v_fma_f16 v50, v24, s13, v50
	v_add_f16_e32 v51, v51, v52
	v_add_f16_sdwa v52, v27, v9 dst_sel:DWORD dst_unused:UNUSED_PAD src0_sel:WORD_1 src1_sel:WORD_1
	v_fma_f16 v46, v24, s7, v46
	v_fma_f16 v8, v8, s10, v10
	;; [unrolled: 1-line block ×3, first 2 shown]
	v_pk_add_f16 v24, v25, v27
	v_sub_f16_e32 v25, v19, v17
	v_sub_f16_e32 v27, v23, v15
	v_fma_f16 v42, v41, s6, v39
	v_sub_f16_e32 v43, v11, v13
	v_fma_f16 v40, v52, -0.5, v40
	v_fma_f16 v10, v37, s7, v10
	v_fma_f16 v18, v41, s12, v39
	v_add_f16_e32 v25, v27, v25
	v_add_f16_e32 v27, v15, v17
	v_fma_f16 v26, v37, s13, v26
	v_fma_f16 v42, v43, s7, v42
	;; [unrolled: 1-line block ×6, first 2 shown]
	v_pk_add_f16 v22, v21, v23
	v_fma_f16 v27, v27, -0.5, v21
	v_sub_f16_sdwa v37, v23, v19 dst_sel:DWORD dst_unused:UNUSED_PAD src0_sel:WORD_1 src1_sel:WORD_1
	v_sub_f16_e32 v43, v15, v23
	v_add_f16_e32 v23, v23, v19
	v_fma_f16 v42, v38, s10, v42
	v_fma_f16 v52, v41, s7, v52
	;; [unrolled: 1-line block ×3, first 2 shown]
	v_mul_f16_e32 v14, 0x38b4, v10
	v_fma_f16 v18, v38, s10, v18
	v_fma_f16 v38, v37, s12, v27
	v_sub_f16_sdwa v39, v15, v17 dst_sel:DWORD dst_unused:UNUSED_PAD src0_sel:WORD_1 src1_sel:WORD_1
	v_fma_f16 v21, v23, -0.5, v21
	v_fma_f16 v27, v37, s6, v27
	v_mul_f16_e32 v44, 0xba79, v42
	v_fma_f16 v52, v51, s10, v52
	v_fma_f16 v40, v51, s10, v40
	v_fma_f16 v14, v18, s11, v14
	v_fma_f16 v38, v39, s13, v38
	v_mul_f16_e32 v41, 0xb8b4, v42
	v_sub_f16_e32 v42, v17, v19
	v_fma_f16 v23, v39, s6, v21
	v_fma_f16 v21, v39, s12, v21
	;; [unrolled: 1-line block ×3, first 2 shown]
	v_mul_f16_e32 v18, 0xb8b4, v18
	v_pk_add_f16 v15, v22, v15
	v_pk_add_f16 v11, v24, v11
	v_fma_f16 v50, v48, s10, v50
	v_mul_f16_e32 v53, 0xb4f2, v52
	v_fma_f16 v46, v48, s10, v46
	v_mul_f16_e32 v48, 0x34f2, v40
	v_fma_f16 v38, v25, s10, v38
	v_add_f16_e32 v42, v43, v42
	v_fma_f16 v23, v37, s13, v23
	v_mul_f16_e32 v43, 0xbb9c, v52
	v_fma_f16 v21, v37, s7, v21
	v_mul_f16_e32 v40, 0xbb9c, v40
	v_fma_f16 v25, v25, s10, v27
	v_fma_f16 v10, v10, s11, v18
	v_pk_add_f16 v15, v15, v17
	v_pk_add_f16 v11, v11, v13
	v_fma_f16 v26, v20, s10, v26
	v_fma_f16 v53, v50, s12, v53
	;; [unrolled: 1-line block ×3, first 2 shown]
	v_sub_f16_e32 v20, v8, v14
	v_fma_f16 v23, v42, s10, v23
	v_fma_f16 v43, v50, s14, v43
	;; [unrolled: 1-line block ×4, first 2 shown]
	v_sub_f16_e32 v18, v25, v10
	v_add_f16_e32 v8, v8, v14
	v_add_f16_e32 v10, v25, v10
	v_mul_i32_i24_e32 v25, 10, v6
	v_pk_add_f16 v15, v15, v19
	v_pk_add_f16 v9, v11, v9
	v_fma_f16 v44, v26, s13, v44
	v_sub_f16_e32 v49, v12, v48
	v_fma_f16 v26, v26, s15, v41
	v_sub_f16_e32 v50, v23, v43
	v_sub_f16_e32 v42, v21, v40
	v_add_f16_e32 v27, v47, v53
	v_add_f16_e32 v12, v12, v48
	;; [unrolled: 1-line block ×4, first 2 shown]
	v_lshl_add_u32 v25, v25, 2, 0
	v_pk_add_f16 v11, v15, v9
	v_pack_b32_f16 v8, v10, v8
	v_sub_f16_e32 v45, v16, v44
	v_add_f16_e32 v16, v16, v44
	v_add_f16_e32 v14, v38, v26
	ds_write2_b32 v25, v11, v8 offset1:1
	v_pack_b32_f16 v8, v23, v27
	v_pack_b32_f16 v10, v21, v12
	ds_write2_b32 v25, v10, v8 offset0:2 offset1:3
	v_pk_add_f16 v8, v15, v9 neg_lo:[0,1] neg_hi:[0,1]
	v_pack_b32_f16 v9, v14, v16
	v_sub_f16_e32 v54, v47, v53
	v_sub_f16_e32 v41, v38, v26
	ds_write2_b32 v25, v9, v8 offset0:4 offset1:5
	v_pack_b32_f16 v8, v42, v49
	v_pack_b32_f16 v9, v18, v20
	ds_write2_b32 v25, v9, v8 offset0:6 offset1:7
	v_pack_b32_f16 v8, v41, v45
	v_pack_b32_f16 v9, v50, v54
	ds_write2_b32 v25, v9, v8 offset0:8 offset1:9
.LBB0_15:
	s_or_b64 exec, exec, s[4:5]
	s_movk_i32 s4, 0xcd
	v_mul_lo_u16_sdwa v10, v2, s4 dst_sel:DWORD dst_unused:UNUSED_PAD src0_sel:BYTE_0 src1_sel:DWORD
	v_lshrrev_b16_e32 v19, 11, v10
	v_mul_lo_u16_e32 v10, 10, v19
	v_mov_b32_e32 v13, 5
	v_sub_u16_e32 v20, v2, v10
	v_mul_u32_u24_sdwa v10, v20, v13 dst_sel:DWORD dst_unused:UNUSED_PAD src0_sel:BYTE_0 src1_sel:DWORD
	v_lshlrev_b32_e32 v27, 2, v10
	s_waitcnt lgkmcnt(0)
	; wave barrier
	s_waitcnt lgkmcnt(0)
	global_load_dwordx4 v[37:40], v27, s[8:9]
	v_mul_lo_u16_sdwa v14, v7, s4 dst_sel:DWORD dst_unused:UNUSED_PAD src0_sel:BYTE_0 src1_sel:DWORD
	v_lshrrev_b16_e32 v21, 11, v14
	v_mul_lo_u16_e32 v14, 10, v21
	v_sub_u16_e32 v22, v7, v14
	v_mul_u32_u24_sdwa v14, v22, v13 dst_sel:DWORD dst_unused:UNUSED_PAD src0_sel:BYTE_0 src1_sel:DWORD
	v_lshlrev_b32_e32 v91, 2, v14
	ds_read2_b32 v[8:9], v28 offset1:240
	ds_read2_b32 v[10:11], v32 offset0:44 offset1:104
	ds_read2_b32 v[57:58], v30 offset0:148 offset1:208
	;; [unrolled: 1-line block ×4, first 2 shown]
	global_load_dwordx4 v[41:44], v91, s[8:9]
	v_mul_lo_u16_sdwa v17, v6, s4 dst_sel:DWORD dst_unused:UNUSED_PAD src0_sel:BYTE_0 src1_sel:DWORD
	v_lshrrev_b16_e32 v23, 11, v17
	v_mul_lo_u16_e32 v17, 10, v23
	v_sub_u16_e32 v24, v6, v17
	v_mul_u32_u24_sdwa v17, v24, v13 dst_sel:DWORD dst_unused:UNUSED_PAD src0_sel:BYTE_0 src1_sel:DWORD
	v_add_u32_e32 v12, 0x1a00, v28
	v_lshl_add_u32 v16, v2, 2, 0
	v_lshl_add_u32 v15, v7, 2, 0
	v_lshlrev_b32_e32 v96, 2, v17
	ds_read2_b32 v[63:64], v12 offset0:76 offset1:136
	ds_read_b32 v92, v16
	v_lshl_add_u32 v14, v6, 2, 0
	ds_read_b32 v93, v15
	ds_read_b32 v94, v14
	ds_read2_b32 v[65:66], v32 offset0:164 offset1:224
	ds_read2_b32 v[67:68], v1 offset0:12 offset1:72
	;; [unrolled: 1-line block ×3, first 2 shown]
	global_load_dwordx4 v[45:48], v96, s[8:9]
	v_add_u32_e32 v17, 0xf0, v0
	s_mov_b32 s5, 0xcccd
	v_mul_u32_u24_sdwa v25, v17, s5 dst_sel:DWORD dst_unused:UNUSED_PAD src0_sel:WORD_0 src1_sel:DWORD
	v_mul_lo_u16_sdwa v54, v0, s4 dst_sel:DWORD dst_unused:UNUSED_PAD src0_sel:BYTE_0 src1_sel:DWORD
	v_lshrrev_b32_e32 v25, 19, v25
	v_lshrrev_b16_e32 v115, 11, v54
	v_mul_lo_u16_e32 v26, 10, v25
	v_mul_lo_u16_e32 v54, 10, v115
	v_sub_u16_e32 v26, v17, v26
	v_sub_u16_e32 v116, v0, v54
	s_waitcnt lgkmcnt(2)
	v_lshrrev_b32_e32 v53, 16, v65
	v_mul_u32_u24_e32 v49, 5, v26
	v_mul_u32_u24_sdwa v13, v116, v13 dst_sel:DWORD dst_unused:UNUSED_PAD src0_sel:BYTE_0 src1_sel:DWORD
	v_add_u32_e32 v18, 0x1200, v28
	v_lshlrev_b32_e32 v108, 2, v49
	v_lshlrev_b32_e32 v117, 2, v13
	ds_read2_b32 v[71:72], v35 offset0:92 offset1:152
	ds_read2_b32 v[73:74], v33 offset0:68 offset1:128
	s_waitcnt lgkmcnt(3)
	v_lshrrev_b32_e32 v97, 16, v67
	ds_read2_b32 v[75:76], v30 offset0:28 offset1:88
	ds_read2_b32 v[77:78], v1 offset0:132 offset1:192
	;; [unrolled: 1-line block ×4, first 2 shown]
	global_load_dwordx4 v[49:52], v108, s[8:9]
	s_waitcnt lgkmcnt(6)
	v_lshrrev_b32_e32 v98, 16, v69
	global_load_dword v27, v27, s[8:9] offset:16
	v_lshrrev_b32_e32 v102, 16, v66
	s_waitcnt lgkmcnt(5)
	v_lshrrev_b32_e32 v99, 16, v71
	v_lshrrev_b32_e32 v103, 16, v68
	ds_read2_b32 v[83:84], v33 offset0:188 offset1:248
	v_lshrrev_b32_e32 v104, 16, v70
	v_lshrrev_b32_e32 v105, 16, v72
	s_waitcnt lgkmcnt(4)
	v_lshrrev_b32_e32 v109, 16, v75
	s_waitcnt lgkmcnt(3)
	;; [unrolled: 2-line block ×4, first 2 shown]
	v_lshrrev_b32_e32 v112, 16, v81
	v_lshrrev_b32_e32 v86, 16, v11
	;; [unrolled: 1-line block ×6, first 2 shown]
	s_waitcnt lgkmcnt(0)
	v_lshrrev_b32_e32 v113, 16, v83
	v_lshrrev_b32_e32 v100, 16, v73
	;; [unrolled: 1-line block ×3, first 2 shown]
	s_movk_i32 s4, 0x3aee
	v_lshrrev_b32_e32 v95, 16, v92
	v_lshrrev_b32_e32 v106, 16, v74
	v_lshrrev_b32_e32 v101, 16, v93
	v_lshrrev_b32_e32 v107, 16, v94
	v_lshrrev_b32_e32 v114, 16, v9
	s_movk_i32 s6, 0x89
	s_waitcnt vmcnt(4)
	v_mul_f16_sdwa v13, v53, v37 dst_sel:DWORD dst_unused:UNUSED_PAD src0_sel:DWORD src1_sel:WORD_1
	v_fma_f16 v118, v65, v37, v13
	v_mul_f16_sdwa v13, v65, v37 dst_sel:DWORD dst_unused:UNUSED_PAD src0_sel:DWORD src1_sel:WORD_1
	v_fma_f16 v65, v53, v37, -v13
	v_mul_f16_sdwa v13, v97, v38 dst_sel:DWORD dst_unused:UNUSED_PAD src0_sel:DWORD src1_sel:WORD_1
	v_fma_f16 v119, v67, v38, v13
	v_mul_f16_sdwa v13, v67, v38 dst_sel:DWORD dst_unused:UNUSED_PAD src0_sel:DWORD src1_sel:WORD_1
	v_fma_f16 v67, v97, v38, -v13
	;; [unrolled: 4-line block ×3, first 2 shown]
	v_mul_f16_sdwa v13, v71, v40 dst_sel:DWORD dst_unused:UNUSED_PAD src0_sel:DWORD src1_sel:WORD_1
	s_waitcnt vmcnt(3)
	v_mul_f16_sdwa v37, v102, v41 dst_sel:DWORD dst_unused:UNUSED_PAD src0_sel:DWORD src1_sel:WORD_1
	global_load_dwordx4 v[53:56], v117, s[8:9]
	v_fma_f16 v98, v99, v40, -v13
	v_mul_f16_sdwa v13, v99, v40 dst_sel:DWORD dst_unused:UNUSED_PAD src0_sel:DWORD src1_sel:WORD_1
	global_load_dword v99, v117, s[8:9] offset:16
	global_load_dword v120, v91, s[8:9] offset:16
	v_fma_f16 v91, v66, v41, v37
	v_mul_f16_sdwa v37, v66, v41 dst_sel:DWORD dst_unused:UNUSED_PAD src0_sel:DWORD src1_sel:WORD_1
	v_fma_f16 v41, v102, v41, -v37
	v_mul_f16_sdwa v37, v103, v42 dst_sel:DWORD dst_unused:UNUSED_PAD src0_sel:DWORD src1_sel:WORD_1
	v_fma_f16 v66, v68, v42, v37
	v_mul_f16_sdwa v37, v68, v42 dst_sel:DWORD dst_unused:UNUSED_PAD src0_sel:DWORD src1_sel:WORD_1
	v_fma_f16 v42, v103, v42, -v37
	v_mul_f16_sdwa v37, v104, v43 dst_sel:DWORD dst_unused:UNUSED_PAD src0_sel:DWORD src1_sel:WORD_1
	;; [unrolled: 4-line block ×3, first 2 shown]
	v_fma_f16 v70, v72, v44, v37
	v_mul_f16_sdwa v37, v72, v44 dst_sel:DWORD dst_unused:UNUSED_PAD src0_sel:DWORD src1_sel:WORD_1
	v_fma_f16 v71, v71, v40, v13
	v_add_u32_e32 v13, 0x12c, v0
	v_fma_f16 v44, v105, v44, -v37
	s_waitcnt vmcnt(5)
	v_mul_f16_sdwa v37, v109, v45 dst_sel:DWORD dst_unused:UNUSED_PAD src0_sel:DWORD src1_sel:WORD_1
	global_load_dword v72, v96, s[8:9] offset:16
	global_load_dword v102, v108, s[8:9] offset:16
	v_fma_f16 v96, v75, v45, v37
	v_mul_u32_u24_sdwa v37, v13, s5 dst_sel:DWORD dst_unused:UNUSED_PAD src0_sel:WORD_0 src1_sel:DWORD
	v_lshrrev_b32_e32 v103, 19, v37
	v_mul_lo_u16_e32 v37, 10, v103
	v_sub_u16_e32 v104, v13, v37
	v_mul_u32_u24_e32 v37, 5, v104
	v_lshlrev_b32_e32 v105, 2, v37
	global_load_dwordx4 v[37:40], v105, s[8:9]
	v_mul_f16_sdwa v75, v75, v45 dst_sel:DWORD dst_unused:UNUSED_PAD src0_sel:DWORD src1_sel:WORD_1
	global_load_dword v105, v105, s[8:9] offset:16
	v_fma_f16 v45, v109, v45, -v75
	v_mul_f16_sdwa v75, v110, v46 dst_sel:DWORD dst_unused:UNUSED_PAD src0_sel:DWORD src1_sel:WORD_1
	v_fma_f16 v75, v77, v46, v75
	v_mul_f16_sdwa v77, v77, v46 dst_sel:DWORD dst_unused:UNUSED_PAD src0_sel:DWORD src1_sel:WORD_1
	v_fma_f16 v46, v110, v46, -v77
	v_mul_f16_sdwa v77, v111, v47 dst_sel:DWORD dst_unused:UNUSED_PAD src0_sel:DWORD src1_sel:WORD_1
	v_fma_f16 v77, v79, v47, v77
	v_mul_f16_sdwa v79, v79, v47 dst_sel:DWORD dst_unused:UNUSED_PAD src0_sel:DWORD src1_sel:WORD_1
	v_fma_f16 v47, v111, v47, -v79
	v_mul_f16_sdwa v79, v81, v48 dst_sel:DWORD dst_unused:UNUSED_PAD src0_sel:DWORD src1_sel:WORD_1
	v_mul_f16_sdwa v108, v112, v48 dst_sel:DWORD dst_unused:UNUSED_PAD src0_sel:DWORD src1_sel:WORD_1
	v_fma_f16 v79, v112, v48, -v79
	v_fma_f16 v48, v81, v48, v108
	v_lshrrev_b32_e32 v81, 16, v76
	s_waitcnt vmcnt(8)
	v_mul_f16_sdwa v110, v81, v49 dst_sel:DWORD dst_unused:UNUSED_PAD src0_sel:DWORD src1_sel:WORD_1
	v_lshrrev_b32_e32 v108, 16, v78
	v_fma_f16 v110, v76, v49, v110
	v_mul_f16_sdwa v76, v76, v49 dst_sel:DWORD dst_unused:UNUSED_PAD src0_sel:DWORD src1_sel:WORD_1
	v_fma_f16 v49, v81, v49, -v76
	v_mul_f16_sdwa v76, v108, v50 dst_sel:DWORD dst_unused:UNUSED_PAD src0_sel:DWORD src1_sel:WORD_1
	v_lshrrev_b32_e32 v109, 16, v80
	v_fma_f16 v76, v78, v50, v76
	v_mul_f16_sdwa v78, v78, v50 dst_sel:DWORD dst_unused:UNUSED_PAD src0_sel:DWORD src1_sel:WORD_1
	v_fma_f16 v50, v108, v50, -v78
	;; [unrolled: 5-line block ×3, first 2 shown]
	v_mul_f16_sdwa v80, v111, v52 dst_sel:DWORD dst_unused:UNUSED_PAD src0_sel:DWORD src1_sel:WORD_1
	v_fma_f16 v80, v82, v52, v80
	v_mul_f16_sdwa v82, v82, v52 dst_sel:DWORD dst_unused:UNUSED_PAD src0_sel:DWORD src1_sel:WORD_1
	v_fma_f16 v52, v111, v52, -v82
	v_lshrrev_b32_e32 v81, 16, v84
	v_lshrrev_b32_e32 v109, 16, v57
	;; [unrolled: 1-line block ×3, first 2 shown]
	s_mov_b32 s5, 0xbaee
	v_lshrrev_b32_e32 v108, 16, v10
	s_waitcnt vmcnt(6)
	v_mul_f16_sdwa v111, v86, v53 dst_sel:DWORD dst_unused:UNUSED_PAD src0_sel:DWORD src1_sel:WORD_1
	v_fma_f16 v111, v11, v53, v111
	v_mul_f16_sdwa v11, v11, v53 dst_sel:DWORD dst_unused:UNUSED_PAD src0_sel:DWORD src1_sel:WORD_1
	v_fma_f16 v11, v86, v53, -v11
	v_mul_f16_sdwa v53, v87, v54 dst_sel:DWORD dst_unused:UNUSED_PAD src0_sel:DWORD src1_sel:WORD_1
	v_fma_f16 v53, v58, v54, v53
	v_mul_f16_sdwa v58, v58, v54 dst_sel:DWORD dst_unused:UNUSED_PAD src0_sel:DWORD src1_sel:WORD_1
	v_fma_f16 v54, v87, v54, -v58
	;; [unrolled: 4-line block ×3, first 2 shown]
	v_mul_f16_sdwa v60, v62, v56 dst_sel:DWORD dst_unused:UNUSED_PAD src0_sel:DWORD src1_sel:WORD_1
	v_fma_f16 v60, v89, v56, -v60
	v_mul_f16_sdwa v86, v89, v56 dst_sel:DWORD dst_unused:UNUSED_PAD src0_sel:DWORD src1_sel:WORD_1
	s_waitcnt vmcnt(5)
	v_mul_f16_sdwa v88, v64, v99 dst_sel:DWORD dst_unused:UNUSED_PAD src0_sel:DWORD src1_sel:WORD_1
	v_mul_f16_sdwa v89, v90, v99 dst_sel:DWORD dst_unused:UNUSED_PAD src0_sel:DWORD src1_sel:WORD_1
	v_fma_f16 v88, v90, v99, -v88
	v_fma_f16 v64, v64, v99, v89
	ds_read_b32 v87, v28 offset:8400
	v_fma_f16 v56, v62, v56, v86
	v_lshrrev_b32_e32 v62, 16, v61
	s_waitcnt vmcnt(3)
	v_mul_f16_sdwa v99, v113, v72 dst_sel:DWORD dst_unused:UNUSED_PAD src0_sel:DWORD src1_sel:WORD_1
	v_fma_f16 v99, v83, v72, v99
	v_mul_f16_sdwa v83, v83, v72 dst_sel:DWORD dst_unused:UNUSED_PAD src0_sel:DWORD src1_sel:WORD_1
	v_fma_f16 v72, v113, v72, -v83
	s_waitcnt vmcnt(2)
	v_mul_f16_sdwa v83, v81, v102 dst_sel:DWORD dst_unused:UNUSED_PAD src0_sel:DWORD src1_sel:WORD_1
	v_fma_f16 v83, v84, v102, v83
	v_mul_f16_sdwa v84, v84, v102 dst_sel:DWORD dst_unused:UNUSED_PAD src0_sel:DWORD src1_sel:WORD_1
	v_fma_f16 v81, v81, v102, -v84
	v_lshrrev_b32_e32 v86, 16, v63
	s_waitcnt vmcnt(1)
	v_mul_f16_sdwa v84, v109, v37 dst_sel:DWORD dst_unused:UNUSED_PAD src0_sel:DWORD src1_sel:WORD_1
	v_fma_f16 v84, v57, v37, v84
	v_mul_f16_sdwa v57, v57, v37 dst_sel:DWORD dst_unused:UNUSED_PAD src0_sel:DWORD src1_sel:WORD_1
	v_fma_f16 v37, v109, v37, -v57
	v_mul_f16_sdwa v57, v82, v38 dst_sel:DWORD dst_unused:UNUSED_PAD src0_sel:DWORD src1_sel:WORD_1
	v_fma_f16 v57, v59, v38, v57
	v_mul_f16_sdwa v59, v59, v38 dst_sel:DWORD dst_unused:UNUSED_PAD src0_sel:DWORD src1_sel:WORD_1
	v_fma_f16 v38, v82, v38, -v59
	v_mul_f16_sdwa v59, v62, v39 dst_sel:DWORD dst_unused:UNUSED_PAD src0_sel:DWORD src1_sel:WORD_1
	v_fma_f16 v59, v61, v39, v59
	v_mul_f16_sdwa v61, v61, v39 dst_sel:DWORD dst_unused:UNUSED_PAD src0_sel:DWORD src1_sel:WORD_1
	v_mul_f16_sdwa v89, v73, v27 dst_sel:DWORD dst_unused:UNUSED_PAD src0_sel:DWORD src1_sel:WORD_1
	;; [unrolled: 1-line block ×3, first 2 shown]
	v_fma_f16 v39, v62, v39, -v61
	v_mul_f16_sdwa v61, v86, v40 dst_sel:DWORD dst_unused:UNUSED_PAD src0_sel:DWORD src1_sel:WORD_1
	v_mul_f16_sdwa v62, v63, v40 dst_sel:DWORD dst_unused:UNUSED_PAD src0_sel:DWORD src1_sel:WORD_1
	v_fma_f16 v89, v100, v27, -v89
	v_fma_f16 v27, v73, v27, v90
	s_waitcnt lgkmcnt(0)
	v_lshrrev_b32_e32 v90, 16, v87
	v_fma_f16 v61, v63, v40, v61
	v_fma_f16 v40, v86, v40, -v62
	v_add_f16_e32 v86, v53, v56
	s_waitcnt vmcnt(0)
	v_mul_f16_sdwa v62, v90, v105 dst_sel:DWORD dst_unused:UNUSED_PAD src0_sel:DWORD src1_sel:WORD_1
	v_add_f16_e32 v82, v8, v53
	v_fma_f16 v8, v86, -0.5, v8
	v_sub_f16_e32 v86, v54, v60
	v_fma_f16 v62, v87, v105, v62
	v_mul_f16_sdwa v63, v87, v105 dst_sel:DWORD dst_unused:UNUSED_PAD src0_sel:DWORD src1_sel:WORD_1
	v_fma_f16 v87, v86, s5, v8
	v_fma_f16 v8, v86, s4, v8
	v_add_f16_e32 v86, v85, v54
	v_add_f16_e32 v86, v86, v60
	;; [unrolled: 1-line block ×4, first 2 shown]
	v_fma_f16 v54, v54, -0.5, v85
	v_fma_f16 v60, v60, -0.5, v111
	v_sub_f16_e32 v85, v55, v88
	v_fma_f16 v63, v90, v105, -v63
	v_fma_f16 v90, v85, s5, v60
	v_fma_f16 v60, v85, s4, v60
	v_add_f16_e32 v85, v11, v55
	v_add_f16_e32 v55, v55, v88
	v_sub_f16_e32 v53, v53, v56
	v_fma_f16 v11, v55, -0.5, v11
	v_sub_f16_e32 v55, v58, v64
	v_add_f16_e32 v82, v82, v56
	v_fma_f16 v56, v53, s4, v54
	v_fma_f16 v53, v53, s5, v54
	v_add_f16_e32 v54, v111, v58
	v_fma_f16 v58, v55, s4, v11
	v_add_f16_e32 v54, v54, v64
	v_mul_f16_e32 v64, 0xbaee, v58
	v_mul_f16_e32 v58, 0.5, v58
	v_fma_f16 v11, v55, s5, v11
	v_fma_f16 v58, v90, s4, v58
	v_add_f16_e32 v85, v85, v88
	v_fma_f16 v64, v90, 0.5, v64
	v_mul_f16_e32 v100, 0xbaee, v11
	v_add_f16_e32 v90, v56, v58
	v_mul_f16_e32 v11, -0.5, v11
	v_sub_f16_e32 v56, v56, v58
	v_add_f16_e32 v58, v119, v71
	v_add_f16_e32 v55, v82, v54
	;; [unrolled: 1-line block ×3, first 2 shown]
	v_fma_f16 v11, v60, s4, v11
	v_sub_f16_e32 v54, v82, v54
	v_sub_f16_e32 v82, v86, v85
	v_fma_f16 v58, v58, -0.5, v92
	v_sub_f16_e32 v85, v67, v98
	v_fma_f16 v100, v60, -0.5, v100
	v_add_f16_e32 v60, v53, v11
	v_sub_f16_e32 v11, v53, v11
	v_add_f16_e32 v53, v92, v119
	v_fma_f16 v86, v85, s5, v58
	v_fma_f16 v58, v85, s4, v58
	v_add_f16_e32 v85, v95, v67
	v_add_f16_e32 v67, v67, v98
	;; [unrolled: 1-line block ×4, first 2 shown]
	v_fma_f16 v67, v67, -0.5, v95
	v_sub_f16_e32 v71, v119, v71
	v_fma_f16 v92, v92, -0.5, v118
	v_sub_f16_e32 v95, v69, v89
	v_add_f16_e32 v88, v87, v64
	v_sub_f16_e32 v64, v87, v64
	v_add_f16_e32 v85, v85, v98
	v_fma_f16 v87, v71, s4, v67
	v_fma_f16 v67, v71, s5, v67
	v_add_f16_e32 v71, v118, v97
	v_fma_f16 v98, v95, s5, v92
	v_fma_f16 v92, v95, s4, v92
	v_add_f16_e32 v95, v65, v69
	v_add_f16_e32 v69, v69, v89
	;; [unrolled: 1-line block ×3, first 2 shown]
	v_fma_f16 v65, v69, -0.5, v65
	v_sub_f16_e32 v27, v97, v27
	v_fma_f16 v69, v27, s4, v65
	v_add_f16_e32 v95, v95, v89
	v_mul_f16_e32 v89, 0xbaee, v69
	v_fma_f16 v27, v27, s5, v65
	v_fma_f16 v89, v98, 0.5, v89
	v_mul_f16_e32 v69, 0.5, v69
	v_add_f16_e32 v102, v8, v100
	v_sub_f16_e32 v8, v8, v100
	v_add_f16_e32 v65, v53, v71
	v_add_f16_e32 v97, v86, v89
	v_mul_f16_e32 v100, 0xbaee, v27
	v_fma_f16 v69, v98, s4, v69
	v_mul_f16_e32 v27, -0.5, v27
	v_sub_f16_e32 v53, v53, v71
	v_sub_f16_e32 v71, v86, v89
	v_add_f16_e32 v86, v66, v70
	v_mul_f16_sdwa v73, v106, v120 dst_sel:DWORD dst_unused:UNUSED_PAD src0_sel:DWORD src1_sel:WORD_1
	v_add_f16_e32 v98, v87, v69
	v_fma_f16 v27, v92, s4, v27
	v_sub_f16_e32 v69, v87, v69
	v_fma_f16 v86, v86, -0.5, v93
	v_sub_f16_e32 v87, v42, v44
	v_fma_f16 v73, v74, v120, v73
	v_mul_f16_sdwa v74, v74, v120 dst_sel:DWORD dst_unused:UNUSED_PAD src0_sel:DWORD src1_sel:WORD_1
	v_fma_f16 v100, v92, -0.5, v100
	v_add_f16_e32 v92, v67, v27
	v_sub_f16_e32 v27, v67, v27
	v_add_f16_e32 v67, v93, v66
	v_fma_f16 v89, v87, s5, v86
	v_fma_f16 v86, v87, s4, v86
	v_add_f16_e32 v87, v101, v42
	v_add_f16_e32 v42, v42, v44
	v_fma_f16 v74, v106, v120, -v74
	v_add_f16_e32 v67, v67, v70
	v_add_f16_e32 v87, v87, v44
	v_fma_f16 v42, v42, -0.5, v101
	v_sub_f16_e32 v44, v66, v70
	v_add_f16_e32 v70, v68, v73
	v_fma_f16 v66, v44, s4, v42
	v_fma_f16 v42, v44, s5, v42
	v_add_f16_e32 v44, v91, v68
	v_fma_f16 v70, v70, -0.5, v91
	v_sub_f16_e32 v91, v43, v74
	v_fma_f16 v93, v91, s5, v70
	v_fma_f16 v70, v91, s4, v70
	v_add_f16_e32 v91, v41, v43
	v_add_f16_e32 v43, v43, v74
	v_fma_f16 v41, v43, -0.5, v41
	v_sub_f16_e32 v43, v68, v73
	v_fma_f16 v68, v43, s4, v41
	v_add_f16_e32 v44, v44, v73
	v_fma_f16 v41, v43, s5, v41
	v_mul_f16_e32 v73, 0xbaee, v68
	v_mul_f16_e32 v68, 0.5, v68
	v_add_f16_e32 v109, v85, v95
	v_sub_f16_e32 v85, v85, v95
	v_mul_f16_e32 v95, 0xbaee, v41
	v_fma_f16 v68, v93, s4, v68
	v_add_f16_e32 v91, v91, v74
	v_fma_f16 v73, v93, 0.5, v73
	v_fma_f16 v95, v70, -0.5, v95
	v_add_f16_e32 v93, v66, v68
	v_sub_f16_e32 v66, v66, v68
	v_add_f16_e32 v68, v75, v48
	v_add_f16_e32 v106, v58, v100
	v_sub_f16_e32 v58, v58, v100
	v_add_f16_e32 v43, v67, v44
	v_add_f16_e32 v74, v89, v73
	;; [unrolled: 1-line block ×4, first 2 shown]
	v_sub_f16_e32 v44, v67, v44
	v_sub_f16_e32 v67, v89, v73
	;; [unrolled: 1-line block ×4, first 2 shown]
	v_fma_f16 v68, v68, -0.5, v94
	v_sub_f16_e32 v87, v46, v79
	v_fma_f16 v89, v87, s5, v68
	v_fma_f16 v68, v87, s4, v68
	v_add_f16_e32 v87, v107, v46
	v_mul_f16_e32 v41, -0.5, v41
	v_add_f16_e32 v87, v87, v79
	v_add_f16_e32 v46, v46, v79
	;; [unrolled: 1-line block ×3, first 2 shown]
	v_fma_f16 v41, v70, s4, v41
	v_fma_f16 v79, v79, -0.5, v96
	v_sub_f16_e32 v91, v47, v72
	v_add_f16_e32 v70, v42, v41
	v_sub_f16_e32 v41, v42, v41
	v_add_f16_e32 v42, v94, v75
	v_fma_f16 v94, v91, s5, v79
	v_fma_f16 v79, v91, s4, v79
	v_add_f16_e32 v91, v45, v47
	v_add_f16_e32 v47, v47, v72
	v_fma_f16 v45, v47, -0.5, v45
	v_sub_f16_e32 v47, v77, v99
	v_add_f16_e32 v42, v42, v48
	v_fma_f16 v46, v46, -0.5, v107
	v_sub_f16_e32 v48, v75, v48
	v_add_f16_e32 v91, v91, v72
	v_fma_f16 v72, v47, s4, v45
	v_fma_f16 v75, v48, s4, v46
	;; [unrolled: 1-line block ×3, first 2 shown]
	v_add_f16_e32 v48, v96, v77
	v_fma_f16 v45, v47, s5, v45
	v_mul_f16_e32 v77, 0xbaee, v72
	v_mul_f16_e32 v72, 0.5, v72
	v_mul_f16_e32 v96, 0xbaee, v45
	v_fma_f16 v72, v94, s4, v72
	v_mul_f16_e32 v45, -0.5, v45
	v_fma_f16 v77, v94, 0.5, v77
	v_add_f16_e32 v94, v75, v72
	v_fma_f16 v45, v79, s4, v45
	v_sub_f16_e32 v72, v75, v72
	v_add_f16_e32 v75, v76, v80
	v_add_f16_e32 v48, v48, v99
	v_fma_f16 v96, v79, -0.5, v96
	v_add_f16_e32 v79, v46, v45
	v_sub_f16_e32 v45, v46, v45
	v_add_f16_e32 v46, v9, v76
	v_fma_f16 v9, v75, -0.5, v9
	v_sub_f16_e32 v75, v50, v52
	v_add_f16_e32 v47, v42, v48
	v_add_f16_e32 v95, v89, v77
	;; [unrolled: 1-line block ×3, first 2 shown]
	v_sub_f16_e32 v42, v42, v48
	v_sub_f16_e32 v48, v89, v77
	v_sub_f16_e32 v77, v87, v91
	v_fma_f16 v87, v75, s5, v9
	v_fma_f16 v9, v75, s4, v9
	v_add_f16_e32 v75, v114, v50
	v_add_f16_e32 v46, v46, v80
	;; [unrolled: 1-line block ×4, first 2 shown]
	v_sub_f16_e32 v52, v76, v80
	v_add_f16_e32 v80, v78, v83
	v_fma_f16 v80, v80, -0.5, v110
	v_sub_f16_e32 v89, v51, v81
	v_fma_f16 v91, v89, s5, v80
	v_fma_f16 v80, v89, s4, v80
	v_add_f16_e32 v89, v49, v51
	v_add_f16_e32 v51, v51, v81
	v_fma_f16 v50, v50, -0.5, v114
	v_fma_f16 v49, v51, -0.5, v49
	v_sub_f16_e32 v51, v78, v83
	v_fma_f16 v76, v52, s4, v50
	v_fma_f16 v50, v52, s5, v50
	v_add_f16_e32 v52, v110, v78
	v_fma_f16 v78, v51, s4, v49
	v_add_f16_e32 v89, v89, v81
	v_fma_f16 v49, v51, s5, v49
	v_mul_f16_e32 v81, 0xbaee, v78
	v_mul_f16_e32 v78, 0.5, v78
	v_add_f16_e32 v99, v68, v96
	v_sub_f16_e32 v68, v68, v96
	v_mul_f16_e32 v96, 0xbaee, v49
	v_fma_f16 v78, v91, s4, v78
	v_mul_f16_e32 v49, -0.5, v49
	v_fma_f16 v81, v91, 0.5, v81
	v_add_f16_e32 v91, v76, v78
	v_fma_f16 v49, v80, s4, v49
	v_sub_f16_e32 v76, v76, v78
	v_add_f16_e32 v78, v57, v61
	v_add_f16_e32 v52, v52, v83
	v_fma_f16 v96, v80, -0.5, v96
	v_add_f16_e32 v80, v50, v49
	v_sub_f16_e32 v49, v50, v49
	v_add_f16_e32 v50, v10, v57
	v_fma_f16 v10, v78, -0.5, v10
	v_sub_f16_e32 v78, v38, v40
	v_add_f16_e32 v51, v46, v52
	v_add_f16_e32 v83, v87, v81
	v_sub_f16_e32 v46, v46, v52
	v_sub_f16_e32 v52, v87, v81
	v_fma_f16 v81, v78, s5, v10
	v_fma_f16 v10, v78, s4, v10
	v_add_f16_e32 v78, v108, v38
	v_add_f16_e32 v38, v38, v40
	;; [unrolled: 1-line block ×4, first 2 shown]
	v_fma_f16 v38, v38, -0.5, v108
	v_sub_f16_e32 v40, v57, v61
	v_add_f16_e32 v61, v59, v62
	v_fma_f16 v57, v40, s4, v38
	v_fma_f16 v38, v40, s5, v38
	v_add_f16_e32 v40, v84, v59
	v_fma_f16 v61, v61, -0.5, v84
	v_sub_f16_e32 v84, v39, v63
	v_fma_f16 v87, v84, s5, v61
	v_fma_f16 v61, v84, s4, v61
	v_add_f16_e32 v84, v37, v39
	v_add_f16_e32 v39, v39, v63
	v_fma_f16 v37, v39, -0.5, v37
	v_sub_f16_e32 v39, v59, v62
	v_fma_f16 v59, v39, s4, v37
	v_add_f16_e32 v40, v40, v62
	v_fma_f16 v37, v39, s5, v37
	v_mul_f16_e32 v62, 0xbaee, v59
	v_mul_f16_e32 v59, 0.5, v59
	v_add_f16_e32 v111, v75, v89
	v_sub_f16_e32 v75, v75, v89
	v_mul_f16_e32 v89, 0xbaee, v37
	v_fma_f16 v59, v87, s4, v59
	v_mul_f16_e32 v37, -0.5, v37
	v_add_f16_e32 v84, v84, v63
	v_fma_f16 v62, v87, 0.5, v62
	v_add_f16_e32 v87, v57, v59
	v_fma_f16 v37, v61, s4, v37
	v_sub_f16_e32 v57, v57, v59
	v_mov_b32_e32 v59, 2
	v_add_f16_e32 v39, v50, v40
	v_add_f16_e32 v63, v81, v62
	v_fma_f16 v89, v61, -0.5, v89
	v_add_f16_e32 v108, v78, v84
	v_add_f16_e32 v61, v38, v37
	v_sub_f16_e32 v40, v50, v40
	v_sub_f16_e32 v50, v81, v62
	;; [unrolled: 1-line block ×4, first 2 shown]
	v_mul_u32_u24_e32 v38, 0xf0, v115
	v_lshlrev_b32_sdwa v78, v59, v116 dst_sel:DWORD dst_unused:UNUSED_PAD src0_sel:DWORD src1_sel:BYTE_0
	v_add3_u32 v38, 0, v38, v78
	v_pack_b32_f16 v55, v55, v105
	v_pack_b32_f16 v78, v88, v90
	s_waitcnt lgkmcnt(0)
	; wave barrier
	ds_write2_b32 v38, v55, v78 offset1:10
	v_pack_b32_f16 v55, v102, v60
	v_pack_b32_f16 v54, v54, v82
	ds_write2_b32 v38, v55, v54 offset0:20 offset1:30
	v_pack_b32_f16 v54, v64, v56
	v_pack_b32_f16 v8, v8, v11
	ds_write2_b32 v38, v54, v8 offset0:40 offset1:50
	v_mul_u32_u24_e32 v8, 0xf0, v19
	v_lshlrev_b32_sdwa v11, v59, v20 dst_sel:DWORD dst_unused:UNUSED_PAD src0_sel:DWORD src1_sel:BYTE_0
	v_add3_u32 v8, 0, v8, v11
	v_pack_b32_f16 v11, v65, v109
	v_pack_b32_f16 v19, v97, v98
	ds_write2_b32 v8, v11, v19 offset1:10
	v_pack_b32_f16 v11, v106, v92
	v_pack_b32_f16 v19, v53, v85
	ds_write2_b32 v8, v11, v19 offset0:20 offset1:30
	v_pack_b32_f16 v11, v71, v69
	v_pack_b32_f16 v19, v58, v27
	ds_write2_b32 v8, v11, v19 offset0:40 offset1:50
	v_mul_u32_u24_e32 v8, 0xf0, v21
	v_lshlrev_b32_sdwa v11, v59, v22 dst_sel:DWORD dst_unused:UNUSED_PAD src0_sel:DWORD src1_sel:BYTE_0
	v_add3_u32 v8, 0, v8, v11
	v_pack_b32_f16 v11, v43, v101
	v_pack_b32_f16 v19, v74, v93
	;; [unrolled: 12-line block ×3, first 2 shown]
	ds_write2_b32 v8, v11, v19 offset1:10
	v_pack_b32_f16 v11, v99, v79
	v_pack_b32_f16 v19, v42, v77
	ds_write2_b32 v8, v11, v19 offset0:20 offset1:30
	v_pack_b32_f16 v11, v48, v72
	v_pack_b32_f16 v19, v68, v45
	ds_write2_b32 v8, v11, v19 offset0:40 offset1:50
	v_mul_u32_u24_e32 v8, 0xf0, v25
	v_lshlrev_b32_e32 v11, 2, v26
	v_add_f16_e32 v110, v9, v96
	v_add3_u32 v8, 0, v8, v11
	v_pack_b32_f16 v11, v51, v111
	v_pack_b32_f16 v19, v83, v91
	v_sub_f16_e32 v9, v9, v96
	ds_write2_b32 v8, v11, v19 offset1:10
	v_pack_b32_f16 v11, v110, v80
	v_pack_b32_f16 v19, v46, v75
	ds_write2_b32 v8, v11, v19 offset0:20 offset1:30
	v_pack_b32_f16 v11, v52, v76
	v_pack_b32_f16 v9, v9, v49
	ds_write2_b32 v8, v11, v9 offset0:40 offset1:50
	v_mul_u32_u24_e32 v8, 0xf0, v103
	v_lshlrev_b32_e32 v9, 2, v104
	v_add_f16_e32 v96, v10, v89
	v_add3_u32 v8, 0, v8, v9
	v_pack_b32_f16 v9, v39, v108
	v_pack_b32_f16 v11, v63, v87
	v_sub_f16_e32 v10, v10, v89
	ds_write2_b32 v8, v9, v11 offset1:10
	v_pack_b32_f16 v9, v96, v61
	v_pack_b32_f16 v11, v40, v62
	ds_write2_b32 v8, v9, v11 offset0:20 offset1:30
	v_pack_b32_f16 v9, v50, v57
	v_pack_b32_f16 v10, v10, v37
	ds_write2_b32 v8, v9, v10 offset0:40 offset1:50
	v_mul_u32_u24_e32 v8, 5, v0
	v_lshlrev_b32_e32 v19, 2, v8
	v_mul_lo_u16_sdwa v8, v7, s6 dst_sel:DWORD dst_unused:UNUSED_PAD src0_sel:BYTE_0 src1_sel:DWORD
	v_lshrrev_b16_e32 v8, 13, v8
	s_waitcnt lgkmcnt(0)
	; wave barrier
	s_waitcnt lgkmcnt(0)
	global_load_dwordx4 v[20:23], v19, s[8:9] offset:200
	v_mul_lo_u16_e32 v8, 60, v8
	v_sub_u16_e32 v8, v7, v8
	v_and_b32_e32 v10, 0xff, v8
	v_mul_u32_u24_e32 v8, 5, v10
	v_lshlrev_b32_e32 v43, 2, v8
	global_load_dwordx4 v[24:27], v43, s[8:9] offset:200
	ds_read2_b32 v[45:46], v28 offset1:240
	ds_read2_b32 v[47:48], v36 offset0:124 offset1:184
	ds_read2_b32 v[8:9], v32 offset0:44 offset1:104
	;; [unrolled: 1-line block ×5, first 2 shown]
	ds_read_b32 v75, v16
	s_waitcnt lgkmcnt(4)
	v_lshrrev_b32_e32 v108, 16, v9
	ds_read_b32 v78, v15
	ds_read_b32 v79, v14
	ds_read2_b32 v[41:42], v32 offset0:164 offset1:224
	ds_read2_b32 v[55:56], v1 offset0:12 offset1:72
	;; [unrolled: 1-line block ×5, first 2 shown]
	s_waitcnt lgkmcnt(4)
	v_lshrrev_b32_e32 v44, 16, v41
	s_waitcnt lgkmcnt(3)
	v_lshrrev_b32_e32 v81, 16, v55
	v_lshrrev_b32_e32 v86, 16, v42
	v_mul_lo_u16_sdwa v11, v6, s6 dst_sel:DWORD dst_unused:UNUSED_PAD src0_sel:BYTE_0 src1_sel:DWORD
	v_lshrrev_b16_e32 v11, 13, v11
	v_mul_lo_u16_e32 v11, 60, v11
	s_mov_b32 s6, 0x8889
	v_sub_u16_e32 v11, v6, v11
	v_and_b32_e32 v11, 0xff, v11
	v_mul_u32_u24_e32 v37, 5, v11
	v_lshrrev_b32_e32 v87, 16, v56
	v_lshlrev_b32_e32 v98, 2, v37
	ds_read2_b32 v[63:64], v30 offset0:28 offset1:88
	ds_read2_b32 v[65:66], v1 offset0:132 offset1:192
	;; [unrolled: 1-line block ×5, first 2 shown]
	global_load_dwordx4 v[37:40], v98, s[8:9] offset:200
	global_load_dword v112, v43, s[8:9] offset:216
	s_waitcnt lgkmcnt(7)
	v_lshrrev_b32_e32 v88, 16, v58
	global_load_dword v109, v19, s[8:9] offset:216
	s_waitcnt lgkmcnt(6)
	v_lshrrev_b32_e32 v89, 16, v60
	global_load_dword v98, v98, s[8:9] offset:216
	v_lshrrev_b32_e32 v82, 16, v57
	v_lshrrev_b32_e32 v117, 16, v54
	;; [unrolled: 1-line block ×5, first 2 shown]
	s_waitcnt lgkmcnt(4)
	v_lshrrev_b32_e32 v92, 16, v63
	v_lshrrev_b32_e32 v99, 16, v64
	s_waitcnt lgkmcnt(3)
	v_lshrrev_b32_e32 v100, 16, v66
	s_waitcnt lgkmcnt(2)
	;; [unrolled: 2-line block ×3, first 2 shown]
	v_lshrrev_b32_e32 v102, 16, v70
	v_lshrrev_b32_e32 v93, 16, v65
	s_waitcnt lgkmcnt(0)
	v_lshrrev_b32_e32 v103, 16, v72
	v_lshrrev_b32_e32 v94, 16, v67
	;; [unrolled: 1-line block ×16, first 2 shown]
	s_waitcnt vmcnt(5)
	v_mul_f16_sdwa v110, v20, v108 dst_sel:DWORD dst_unused:UNUSED_PAD src0_sel:WORD_1 src1_sel:DWORD
	v_fma_f16 v110, v20, v9, v110
	v_mul_f16_sdwa v9, v20, v9 dst_sel:DWORD dst_unused:UNUSED_PAD src0_sel:WORD_1 src1_sel:DWORD
	v_fma_f16 v9, v20, v108, -v9
	v_mul_f16_sdwa v108, v44, v20 dst_sel:DWORD dst_unused:UNUSED_PAD src0_sel:DWORD src1_sel:WORD_1
	v_fma_f16 v108, v41, v20, v108
	v_mul_f16_sdwa v41, v41, v20 dst_sel:DWORD dst_unused:UNUSED_PAD src0_sel:DWORD src1_sel:WORD_1
	v_fma_f16 v20, v44, v20, -v41
	v_mul_f16_sdwa v41, v81, v21 dst_sel:DWORD dst_unused:UNUSED_PAD src0_sel:DWORD src1_sel:WORD_1
	v_fma_f16 v111, v55, v21, v41
	s_waitcnt vmcnt(4)
	v_mul_f16_sdwa v41, v86, v24 dst_sel:DWORD dst_unused:UNUSED_PAD src0_sel:DWORD src1_sel:WORD_1
	v_fma_f16 v113, v42, v24, v41
	v_mul_f16_sdwa v41, v42, v24 dst_sel:DWORD dst_unused:UNUSED_PAD src0_sel:DWORD src1_sel:WORD_1
	v_fma_f16 v86, v86, v24, -v41
	v_mul_u32_u24_sdwa v24, v17, s6 dst_sel:DWORD dst_unused:UNUSED_PAD src0_sel:WORD_0 src1_sel:DWORD
	v_lshrrev_b32_e32 v24, 21, v24
	v_mul_lo_u16_e32 v24, 60, v24
	v_sub_u16_e32 v114, v17, v24
	v_mul_u32_u24_e32 v24, 5, v114
	v_mul_f16_sdwa v115, v87, v25 dst_sel:DWORD dst_unused:UNUSED_PAD src0_sel:DWORD src1_sel:WORD_1
	v_lshlrev_b32_e32 v24, 2, v24
	v_fma_f16 v115, v56, v25, v115
	v_mul_f16_sdwa v56, v56, v25 dst_sel:DWORD dst_unused:UNUSED_PAD src0_sel:DWORD src1_sel:WORD_1
	global_load_dwordx4 v[41:44], v24, s[8:9] offset:200
	v_fma_f16 v56, v87, v25, -v56
	v_mul_f16_sdwa v25, v88, v26 dst_sel:DWORD dst_unused:UNUSED_PAD src0_sel:DWORD src1_sel:WORD_1
	v_fma_f16 v87, v58, v26, v25
	v_mul_f16_sdwa v25, v58, v26 dst_sel:DWORD dst_unused:UNUSED_PAD src0_sel:DWORD src1_sel:WORD_1
	v_fma_f16 v58, v88, v26, -v25
	v_mul_f16_sdwa v25, v89, v27 dst_sel:DWORD dst_unused:UNUSED_PAD src0_sel:DWORD src1_sel:WORD_1
	v_fma_f16 v88, v60, v27, v25
	v_mul_f16_sdwa v25, v60, v27 dst_sel:DWORD dst_unused:UNUSED_PAD src0_sel:DWORD src1_sel:WORD_1
	v_fma_f16 v60, v89, v27, -v25
	global_load_dword v89, v24, s[8:9] offset:216
	v_mul_u32_u24_sdwa v24, v13, s6 dst_sel:DWORD dst_unused:UNUSED_PAD src0_sel:WORD_0 src1_sel:DWORD
	v_lshrrev_b32_e32 v24, 21, v24
	v_mul_lo_u16_e32 v24, 60, v24
	v_sub_u16_e32 v13, v13, v24
	v_mul_u32_u24_e32 v24, 5, v13
	v_lshlrev_b32_e32 v116, 2, v24
	global_load_dwordx4 v[24:27], v116, s[8:9] offset:200
	v_mul_f16_sdwa v55, v55, v21 dst_sel:DWORD dst_unused:UNUSED_PAD src0_sel:DWORD src1_sel:WORD_1
	global_load_dword v116, v116, s[8:9] offset:216
	v_fma_f16 v55, v81, v21, -v55
	v_mul_f16_sdwa v81, v82, v22 dst_sel:DWORD dst_unused:UNUSED_PAD src0_sel:DWORD src1_sel:WORD_1
	v_mul_f16_sdwa v118, v21, v54 dst_sel:DWORD dst_unused:UNUSED_PAD src0_sel:WORD_1 src1_sel:DWORD
	v_fma_f16 v81, v57, v22, v81
	v_mul_f16_sdwa v57, v57, v22 dst_sel:DWORD dst_unused:UNUSED_PAD src0_sel:DWORD src1_sel:WORD_1
	v_fma_f16 v118, v21, v117, -v118
	v_mul_f16_sdwa v117, v21, v117 dst_sel:DWORD dst_unused:UNUSED_PAD src0_sel:WORD_1 src1_sel:DWORD
	v_fma_f16 v21, v21, v54, v117
	v_fma_f16 v54, v82, v22, -v57
	v_mul_f16_sdwa v57, v83, v23 dst_sel:DWORD dst_unused:UNUSED_PAD src0_sel:DWORD src1_sel:WORD_1
	v_mul_f16_sdwa v82, v48, v22 dst_sel:DWORD dst_unused:UNUSED_PAD src0_sel:DWORD src1_sel:WORD_1
	v_fma_f16 v57, v59, v23, v57
	v_mul_f16_sdwa v59, v59, v23 dst_sel:DWORD dst_unused:UNUSED_PAD src0_sel:DWORD src1_sel:WORD_1
	v_fma_f16 v82, v74, v22, -v82
	v_mul_f16_sdwa v74, v74, v22 dst_sel:DWORD dst_unused:UNUSED_PAD src0_sel:DWORD src1_sel:WORD_1
	v_fma_f16 v22, v48, v22, v74
	v_fma_f16 v48, v83, v23, -v59
	v_mul_f16_sdwa v59, v50, v23 dst_sel:DWORD dst_unused:UNUSED_PAD src0_sel:DWORD src1_sel:WORD_1
	v_mul_f16_sdwa v74, v76, v23 dst_sel:DWORD dst_unused:UNUSED_PAD src0_sel:DWORD src1_sel:WORD_1
	v_fma_f16 v59, v76, v23, -v59
	v_fma_f16 v23, v50, v23, v74
	s_waitcnt vmcnt(7)
	v_mul_f16_sdwa v50, v92, v37 dst_sel:DWORD dst_unused:UNUSED_PAD src0_sel:DWORD src1_sel:WORD_1
	v_fma_f16 v50, v63, v37, v50
	v_mul_f16_sdwa v63, v63, v37 dst_sel:DWORD dst_unused:UNUSED_PAD src0_sel:DWORD src1_sel:WORD_1
	v_fma_f16 v37, v92, v37, -v63
	v_mul_f16_sdwa v63, v93, v38 dst_sel:DWORD dst_unused:UNUSED_PAD src0_sel:DWORD src1_sel:WORD_1
	v_fma_f16 v63, v65, v38, v63
	v_mul_f16_sdwa v65, v65, v38 dst_sel:DWORD dst_unused:UNUSED_PAD src0_sel:DWORD src1_sel:WORD_1
	v_fma_f16 v38, v93, v38, -v65
	;; [unrolled: 4-line block ×3, first 2 shown]
	v_mul_f16_sdwa v67, v69, v40 dst_sel:DWORD dst_unused:UNUSED_PAD src0_sel:DWORD src1_sel:WORD_1
	v_mul_f16_sdwa v74, v95, v40 dst_sel:DWORD dst_unused:UNUSED_PAD src0_sel:DWORD src1_sel:WORD_1
	v_fma_f16 v67, v95, v40, -v67
	v_fma_f16 v40, v69, v40, v74
	ds_read_b32 v74, v28 offset:8400
	v_lshrrev_b32_e32 v69, 16, v51
	s_waitcnt vmcnt(5)
	v_mul_f16_sdwa v76, v77, v109 dst_sel:DWORD dst_unused:UNUSED_PAD src0_sel:DWORD src1_sel:WORD_1
	v_fma_f16 v76, v52, v109, v76
	v_mul_f16_sdwa v52, v52, v109 dst_sel:DWORD dst_unused:UNUSED_PAD src0_sel:DWORD src1_sel:WORD_1
	v_fma_f16 v52, v77, v109, -v52
	v_mul_f16_sdwa v77, v61, v109 dst_sel:DWORD dst_unused:UNUSED_PAD src0_sel:DWORD src1_sel:WORD_1
	v_fma_f16 v77, v84, v109, -v77
	v_mul_f16_sdwa v83, v84, v109 dst_sel:DWORD dst_unused:UNUSED_PAD src0_sel:DWORD src1_sel:WORD_1
	s_waitcnt lgkmcnt(0)
	v_lshrrev_b32_e32 v84, 16, v74
	v_sub_f16_e32 v94, v82, v52
	v_fma_f16 v61, v61, v109, v83
	v_mul_f16_sdwa v83, v90, v112 dst_sel:DWORD dst_unused:UNUSED_PAD src0_sel:DWORD src1_sel:WORD_1
	v_fma_f16 v83, v62, v112, v83
	v_mul_f16_sdwa v62, v62, v112 dst_sel:DWORD dst_unused:UNUSED_PAD src0_sel:DWORD src1_sel:WORD_1
	v_fma_f16 v62, v90, v112, -v62
	s_waitcnt vmcnt(4)
	v_mul_f16_sdwa v90, v96, v98 dst_sel:DWORD dst_unused:UNUSED_PAD src0_sel:DWORD src1_sel:WORD_1
	v_fma_f16 v90, v71, v98, v90
	v_mul_f16_sdwa v71, v71, v98 dst_sel:DWORD dst_unused:UNUSED_PAD src0_sel:DWORD src1_sel:WORD_1
	v_fma_f16 v71, v96, v98, -v71
	s_waitcnt lgkmcnt(0)
	; wave barrier
	v_mul_u32_u24_e32 v17, 5, v17
	s_waitcnt vmcnt(3)
	v_mul_f16_sdwa v92, v99, v41 dst_sel:DWORD dst_unused:UNUSED_PAD src0_sel:DWORD src1_sel:WORD_1
	v_fma_f16 v92, v64, v41, v92
	v_mul_f16_sdwa v64, v64, v41 dst_sel:DWORD dst_unused:UNUSED_PAD src0_sel:DWORD src1_sel:WORD_1
	v_fma_f16 v41, v99, v41, -v64
	v_mul_f16_sdwa v64, v100, v42 dst_sel:DWORD dst_unused:UNUSED_PAD src0_sel:DWORD src1_sel:WORD_1
	v_fma_f16 v64, v66, v42, v64
	v_mul_f16_sdwa v66, v66, v42 dst_sel:DWORD dst_unused:UNUSED_PAD src0_sel:DWORD src1_sel:WORD_1
	v_fma_f16 v42, v100, v42, -v66
	;; [unrolled: 4-line block ×4, first 2 shown]
	s_waitcnt vmcnt(2)
	v_mul_f16_sdwa v70, v103, v89 dst_sel:DWORD dst_unused:UNUSED_PAD src0_sel:DWORD src1_sel:WORD_1
	v_fma_f16 v70, v72, v89, v70
	v_mul_f16_sdwa v72, v72, v89 dst_sel:DWORD dst_unused:UNUSED_PAD src0_sel:DWORD src1_sel:WORD_1
	v_fma_f16 v72, v103, v89, -v72
	s_waitcnt vmcnt(1)
	v_mul_f16_sdwa v89, v105, v24 dst_sel:DWORD dst_unused:UNUSED_PAD src0_sel:DWORD src1_sel:WORD_1
	v_fma_f16 v89, v53, v24, v89
	v_mul_f16_sdwa v53, v53, v24 dst_sel:DWORD dst_unused:UNUSED_PAD src0_sel:DWORD src1_sel:WORD_1
	v_fma_f16 v24, v105, v24, -v53
	v_mul_f16_sdwa v53, v106, v25 dst_sel:DWORD dst_unused:UNUSED_PAD src0_sel:DWORD src1_sel:WORD_1
	v_fma_f16 v53, v47, v25, v53
	v_mul_f16_sdwa v47, v47, v25 dst_sel:DWORD dst_unused:UNUSED_PAD src0_sel:DWORD src1_sel:WORD_1
	v_fma_f16 v25, v106, v25, -v47
	;; [unrolled: 4-line block ×4, first 2 shown]
	s_waitcnt vmcnt(0)
	v_mul_f16_sdwa v69, v74, v116 dst_sel:DWORD dst_unused:UNUSED_PAD src0_sel:DWORD src1_sel:WORD_1
	v_mul_f16_sdwa v51, v84, v116 dst_sel:DWORD dst_unused:UNUSED_PAD src0_sel:DWORD src1_sel:WORD_1
	v_fma_f16 v69, v84, v116, -v69
	v_add_f16_e32 v84, v21, v23
	v_fma_f16 v51, v74, v116, v51
	v_add_f16_e32 v74, v45, v21
	v_fma_f16 v45, v84, -0.5, v45
	v_sub_f16_e32 v84, v118, v59
	v_fma_f16 v93, v84, s5, v45
	v_fma_f16 v45, v84, s4, v45
	v_add_f16_e32 v84, v73, v118
	v_add_f16_e32 v84, v84, v59
	;; [unrolled: 1-line block ×3, first 2 shown]
	v_fma_f16 v59, v59, -0.5, v73
	v_add_f16_e32 v73, v22, v76
	v_fma_f16 v73, v73, -0.5, v110
	v_fma_f16 v95, v94, s5, v73
	v_fma_f16 v73, v94, s4, v73
	v_add_f16_e32 v94, v9, v82
	v_sub_f16_e32 v21, v21, v23
	v_add_f16_e32 v94, v94, v52
	v_add_f16_e32 v52, v82, v52
	;; [unrolled: 1-line block ×3, first 2 shown]
	v_fma_f16 v23, v21, s4, v59
	v_fma_f16 v21, v21, s5, v59
	v_add_f16_e32 v59, v110, v22
	v_fma_f16 v9, v52, -0.5, v9
	v_sub_f16_e32 v22, v22, v76
	v_fma_f16 v52, v22, s4, v9
	v_add_f16_e32 v59, v59, v76
	v_fma_f16 v9, v22, s5, v9
	v_mul_f16_e32 v76, 0xbaee, v52
	v_mul_f16_e32 v52, 0.5, v52
	v_mul_f16_e32 v96, 0xbaee, v9
	v_fma_f16 v52, v95, s4, v52
	v_mul_f16_e32 v9, -0.5, v9
	v_fma_f16 v76, v95, 0.5, v76
	v_add_f16_e32 v95, v23, v52
	v_fma_f16 v9, v73, s4, v9
	v_sub_f16_e32 v23, v23, v52
	v_add_f16_e32 v52, v111, v57
	v_fma_f16 v96, v73, -0.5, v96
	v_add_f16_e32 v73, v21, v9
	v_sub_f16_e32 v9, v21, v9
	v_add_f16_e32 v21, v75, v111
	v_fma_f16 v52, v52, -0.5, v75
	v_sub_f16_e32 v75, v55, v48
	v_add_f16_e32 v22, v74, v59
	v_add_f16_e32 v82, v93, v76
	;; [unrolled: 1-line block ×3, first 2 shown]
	v_sub_f16_e32 v59, v74, v59
	v_sub_f16_e32 v74, v93, v76
	;; [unrolled: 1-line block ×3, first 2 shown]
	v_fma_f16 v84, v75, s5, v52
	v_fma_f16 v52, v75, s4, v52
	v_add_f16_e32 v75, v80, v55
	v_add_f16_e32 v75, v75, v48
	;; [unrolled: 1-line block ×3, first 2 shown]
	v_fma_f16 v48, v48, -0.5, v80
	v_add_f16_e32 v80, v81, v61
	v_fma_f16 v80, v80, -0.5, v108
	v_sub_f16_e32 v93, v54, v77
	v_sub_f16_e32 v55, v111, v57
	v_fma_f16 v94, v93, s5, v80
	v_fma_f16 v80, v93, s4, v80
	v_add_f16_e32 v93, v20, v54
	v_add_f16_e32 v54, v54, v77
	;; [unrolled: 1-line block ×3, first 2 shown]
	v_fma_f16 v57, v55, s4, v48
	v_fma_f16 v48, v55, s5, v48
	v_add_f16_e32 v55, v108, v81
	v_fma_f16 v20, v54, -0.5, v20
	v_sub_f16_e32 v54, v81, v61
	v_add_f16_e32 v55, v55, v61
	v_fma_f16 v61, v54, s4, v20
	v_add_f16_e32 v93, v93, v77
	v_mul_f16_e32 v77, 0xbaee, v61
	v_mul_f16_e32 v61, 0.5, v61
	v_fma_f16 v20, v54, s5, v20
	v_fma_f16 v61, v94, s4, v61
	v_add_f16_e32 v98, v45, v96
	v_sub_f16_e32 v45, v45, v96
	v_fma_f16 v77, v94, 0.5, v77
	v_mul_f16_e32 v96, 0xbaee, v20
	v_add_f16_e32 v94, v57, v61
	v_mul_f16_e32 v20, -0.5, v20
	v_sub_f16_e32 v57, v57, v61
	v_add_f16_e32 v61, v115, v88
	v_add_f16_e32 v54, v21, v55
	;; [unrolled: 1-line block ×3, first 2 shown]
	v_fma_f16 v20, v80, s4, v20
	v_sub_f16_e32 v21, v21, v55
	v_sub_f16_e32 v55, v84, v77
	v_fma_f16 v61, v61, -0.5, v78
	v_sub_f16_e32 v77, v56, v60
	v_fma_f16 v96, v80, -0.5, v96
	v_add_f16_e32 v80, v48, v20
	v_sub_f16_e32 v20, v48, v20
	v_add_f16_e32 v48, v78, v115
	v_fma_f16 v78, v77, s5, v61
	v_fma_f16 v61, v77, s4, v61
	v_add_f16_e32 v77, v85, v56
	v_add_f16_e32 v56, v56, v60
	v_fma_f16 v56, v56, -0.5, v85
	v_add_f16_e32 v85, v87, v83
	v_add_f16_e32 v48, v48, v88
	;; [unrolled: 1-line block ×3, first 2 shown]
	v_sub_f16_e32 v60, v115, v88
	v_fma_f16 v85, v85, -0.5, v113
	v_sub_f16_e32 v88, v58, v62
	v_add_f16_e32 v101, v75, v93
	v_sub_f16_e32 v75, v75, v93
	v_fma_f16 v93, v88, s5, v85
	v_fma_f16 v85, v88, s4, v85
	v_add_f16_e32 v88, v86, v58
	v_add_f16_e32 v58, v58, v62
	v_fma_f16 v84, v60, s4, v56
	v_fma_f16 v56, v60, s5, v56
	v_add_f16_e32 v60, v113, v87
	v_add_f16_e32 v88, v88, v62
	v_fma_f16 v58, v58, -0.5, v86
	v_sub_f16_e32 v62, v87, v83
	v_add_f16_e32 v60, v60, v83
	v_fma_f16 v83, v62, s4, v58
	v_fma_f16 v58, v62, s5, v58
	v_mul_f16_e32 v86, 0xbaee, v83
	v_mul_f16_e32 v83, 0.5, v83
	v_add_f16_e32 v100, v52, v96
	v_sub_f16_e32 v52, v52, v96
	v_fma_f16 v86, v93, 0.5, v86
	v_mul_f16_e32 v96, 0xbaee, v58
	v_fma_f16 v83, v93, s4, v83
	v_mul_f16_e32 v58, -0.5, v58
	v_add_f16_e32 v62, v48, v60
	v_add_f16_e32 v87, v78, v86
	;; [unrolled: 1-line block ×3, first 2 shown]
	v_fma_f16 v58, v85, s4, v58
	v_sub_f16_e32 v48, v48, v60
	v_sub_f16_e32 v60, v78, v86
	;; [unrolled: 1-line block ×3, first 2 shown]
	v_add_f16_e32 v83, v63, v40
	v_fma_f16 v96, v85, -0.5, v96
	v_add_f16_e32 v85, v56, v58
	v_sub_f16_e32 v56, v56, v58
	v_add_f16_e32 v58, v79, v63
	v_fma_f16 v79, v83, -0.5, v79
	v_sub_f16_e32 v83, v38, v67
	v_fma_f16 v84, v83, s5, v79
	v_fma_f16 v79, v83, s4, v79
	v_add_f16_e32 v83, v91, v38
	v_add_f16_e32 v38, v38, v67
	v_add_f16_e32 v58, v58, v40
	v_add_f16_e32 v83, v83, v67
	v_fma_f16 v38, v38, -0.5, v91
	v_sub_f16_e32 v40, v63, v40
	v_add_f16_e32 v67, v65, v90
	v_fma_f16 v63, v40, s4, v38
	v_fma_f16 v38, v40, s5, v38
	v_add_f16_e32 v40, v50, v65
	v_fma_f16 v50, v67, -0.5, v50
	v_sub_f16_e32 v67, v39, v71
	v_fma_f16 v86, v67, s5, v50
	v_fma_f16 v50, v67, s4, v50
	v_add_f16_e32 v67, v37, v39
	v_add_f16_e32 v39, v39, v71
	v_fma_f16 v37, v39, -0.5, v37
	v_sub_f16_e32 v39, v65, v90
	v_fma_f16 v65, v39, s4, v37
	v_add_f16_e32 v67, v67, v71
	v_fma_f16 v37, v39, s5, v37
	v_mul_f16_e32 v71, 0xbaee, v65
	v_mul_f16_e32 v65, 0.5, v65
	v_add_f16_e32 v40, v40, v90
	v_mul_f16_e32 v90, 0xbaee, v37
	v_fma_f16 v65, v86, s4, v65
	v_mul_f16_e32 v37, -0.5, v37
	v_fma_f16 v71, v86, 0.5, v71
	v_add_f16_e32 v86, v63, v65
	v_fma_f16 v37, v50, s4, v37
	v_sub_f16_e32 v63, v63, v65
	v_add_f16_e32 v65, v64, v68
	v_fma_f16 v90, v50, -0.5, v90
	v_add_f16_e32 v50, v38, v37
	v_sub_f16_e32 v37, v38, v37
	v_add_f16_e32 v38, v46, v64
	v_fma_f16 v46, v65, -0.5, v46
	v_sub_f16_e32 v65, v42, v44
	v_add_f16_e32 v103, v77, v88
	v_sub_f16_e32 v77, v77, v88
	v_add_f16_e32 v39, v58, v40
	v_add_f16_e32 v88, v84, v71
	;; [unrolled: 1-line block ×3, first 2 shown]
	v_sub_f16_e32 v40, v58, v40
	v_sub_f16_e32 v58, v84, v71
	;; [unrolled: 1-line block ×3, first 2 shown]
	v_fma_f16 v79, v65, s5, v46
	v_fma_f16 v46, v65, s4, v46
	v_add_f16_e32 v65, v97, v42
	v_add_f16_e32 v38, v38, v68
	;; [unrolled: 1-line block ×4, first 2 shown]
	v_sub_f16_e32 v44, v64, v68
	v_add_f16_e32 v68, v66, v70
	v_add_f16_e32 v102, v61, v96
	v_sub_f16_e32 v61, v61, v96
	v_add_f16_e32 v96, v83, v67
	v_sub_f16_e32 v67, v83, v67
	v_fma_f16 v68, v68, -0.5, v92
	v_sub_f16_e32 v83, v43, v72
	v_fma_f16 v84, v83, s5, v68
	v_fma_f16 v68, v83, s4, v68
	v_add_f16_e32 v83, v41, v43
	v_add_f16_e32 v43, v43, v72
	v_fma_f16 v42, v42, -0.5, v97
	v_fma_f16 v41, v43, -0.5, v41
	v_sub_f16_e32 v43, v66, v70
	v_fma_f16 v64, v44, s4, v42
	v_fma_f16 v42, v44, s5, v42
	v_add_f16_e32 v44, v92, v66
	v_fma_f16 v66, v43, s4, v41
	v_add_f16_e32 v44, v44, v70
	v_fma_f16 v41, v43, s5, v41
	v_mul_f16_e32 v70, 0xbaee, v66
	v_mul_f16_e32 v66, 0.5, v66
	v_mul_f16_e32 v90, 0xbaee, v41
	v_fma_f16 v66, v84, s4, v66
	v_mul_f16_e32 v41, -0.5, v41
	v_fma_f16 v70, v84, 0.5, v70
	v_add_f16_e32 v84, v64, v66
	v_fma_f16 v41, v68, s4, v41
	v_sub_f16_e32 v64, v64, v66
	v_add_f16_e32 v66, v53, v49
	v_fma_f16 v90, v68, -0.5, v90
	v_add_f16_e32 v68, v42, v41
	v_sub_f16_e32 v41, v42, v41
	v_add_f16_e32 v42, v8, v53
	v_fma_f16 v8, v66, -0.5, v8
	v_sub_f16_e32 v66, v25, v27
	v_add_f16_e32 v83, v83, v72
	v_add_f16_e32 v43, v38, v44
	;; [unrolled: 1-line block ×3, first 2 shown]
	v_sub_f16_e32 v38, v38, v44
	v_sub_f16_e32 v44, v79, v70
	v_fma_f16 v70, v66, s5, v8
	v_fma_f16 v8, v66, s4, v8
	v_add_f16_e32 v66, v104, v25
	v_add_f16_e32 v66, v66, v27
	;; [unrolled: 1-line block ×3, first 2 shown]
	v_sub_f16_e32 v27, v53, v49
	v_add_f16_e32 v53, v47, v51
	v_fma_f16 v53, v53, -0.5, v89
	v_sub_f16_e32 v79, v26, v69
	v_add_f16_e32 v97, v65, v83
	v_sub_f16_e32 v65, v65, v83
	v_fma_f16 v83, v79, s5, v53
	v_fma_f16 v53, v79, s4, v53
	v_add_f16_e32 v79, v24, v26
	v_add_f16_e32 v26, v26, v69
	v_fma_f16 v25, v25, -0.5, v104
	v_fma_f16 v24, v26, -0.5, v24
	v_sub_f16_e32 v26, v47, v51
	v_add_f16_e32 v42, v42, v49
	v_fma_f16 v49, v27, s4, v25
	v_fma_f16 v25, v27, s5, v25
	v_add_f16_e32 v27, v89, v47
	v_fma_f16 v47, v26, s4, v24
	v_fma_f16 v24, v26, s5, v24
	v_mul_f16_e32 v89, 0xbaee, v24
	v_mul_f16_e32 v24, -0.5, v24
	v_fma_f16 v24, v53, s4, v24
	v_fma_f16 v89, v53, -0.5, v89
	v_add_f16_e32 v53, v25, v24
	v_sub_f16_e32 v24, v25, v24
	v_pack_b32_f16 v22, v22, v99
	v_pack_b32_f16 v25, v82, v95
	ds_write2_b32 v28, v22, v25 offset1:60
	v_pack_b32_f16 v22, v98, v73
	v_pack_b32_f16 v25, v59, v76
	ds_write2_b32 v28, v22, v25 offset0:120 offset1:180
	v_pack_b32_f16 v22, v74, v23
	v_pack_b32_f16 v9, v45, v9
	ds_write2_b32 v31, v22, v9 offset0:112 offset1:172
	v_pack_b32_f16 v9, v54, v101
	v_pack_b32_f16 v22, v81, v94
	ds_write2_b32 v32, v9, v22 offset0:104 offset1:164
	v_pack_b32_f16 v9, v100, v80
	v_pack_b32_f16 v21, v21, v75
	v_add_u32_e32 v22, 0x600, v28
	ds_write2_b32 v22, v9, v21 offset0:96 offset1:156
	v_pack_b32_f16 v9, v55, v57
	v_pack_b32_f16 v20, v52, v20
	ds_write2_b32 v30, v9, v20 offset0:88 offset1:148
	v_lshl_add_u32 v9, v10, 2, 0
	v_pack_b32_f16 v10, v62, v103
	v_pack_b32_f16 v20, v87, v93
	v_add_u32_e32 v21, 0xa00, v9
	ds_write2_b32 v21, v10, v20 offset0:80 offset1:140
	v_pack_b32_f16 v10, v102, v85
	v_pack_b32_f16 v20, v48, v77
	v_add_u32_e32 v9, 0xc00, v9
	ds_write2_b32 v9, v10, v20 offset0:72 offset1:132
	v_pack_b32_f16 v10, v60, v78
	v_pack_b32_f16 v20, v61, v56
	ds_write2_b32 v9, v10, v20 offset0:192 offset1:252
	v_lshl_add_u32 v9, v11, 2, 0
	v_pack_b32_f16 v10, v39, v96
	v_pack_b32_f16 v11, v88, v86
	v_add_u32_e32 v20, 0x1000, v9
	ds_write2_b32 v20, v10, v11 offset0:56 offset1:116
	v_pack_b32_f16 v10, v91, v50
	v_pack_b32_f16 v11, v40, v67
	ds_write2_b32 v20, v10, v11 offset0:176 offset1:236
	v_pack_b32_f16 v10, v58, v63
	v_pack_b32_f16 v11, v71, v37
	v_add_u32_e32 v9, 0x1400, v9
	ds_write2_b32 v9, v10, v11 offset0:40 offset1:100
	v_lshl_add_u32 v9, v114, 2, 0
	v_add_f16_e32 v92, v46, v90
	v_pack_b32_f16 v10, v43, v97
	v_pack_b32_f16 v11, v72, v84
	v_add_u32_e32 v20, 0x1400, v9
	v_sub_f16_e32 v46, v46, v90
	v_add_f16_e32 v27, v27, v51
	v_mul_f16_e32 v51, 0xbaee, v47
	v_mul_f16_e32 v47, 0.5, v47
	ds_write2_b32 v20, v10, v11 offset0:160 offset1:220
	v_pack_b32_f16 v10, v92, v68
	v_pack_b32_f16 v11, v38, v65
	v_add_u32_e32 v9, 0x1800, v9
	v_add_f16_e32 v79, v79, v69
	v_fma_f16 v51, v83, 0.5, v51
	v_fma_f16 v47, v83, s4, v47
	ds_write2_b32 v9, v10, v11 offset0:24 offset1:84
	v_pack_b32_f16 v10, v44, v64
	v_pack_b32_f16 v11, v46, v41
	v_add_f16_e32 v26, v42, v27
	v_add_f16_e32 v69, v70, v51
	;; [unrolled: 1-line block ×4, first 2 shown]
	ds_write2_b32 v9, v10, v11 offset0:144 offset1:204
	v_lshl_add_u32 v9, v13, 2, 0
	v_add_f16_e32 v90, v8, v89
	v_sub_f16_e32 v27, v42, v27
	v_sub_f16_e32 v42, v70, v51
	;; [unrolled: 1-line block ×3, first 2 shown]
	v_pack_b32_f16 v10, v26, v104
	v_pack_b32_f16 v11, v69, v83
	v_add_u32_e32 v13, 0x1c00, v9
	v_sub_f16_e32 v8, v8, v89
	v_sub_f16_e32 v47, v49, v47
	ds_write2_b32 v13, v10, v11 offset0:8 offset1:68
	v_pack_b32_f16 v10, v90, v53
	v_pack_b32_f16 v11, v27, v51
	ds_write2_b32 v13, v10, v11 offset0:128 offset1:188
	v_pack_b32_f16 v10, v42, v47
	v_pack_b32_f16 v8, v8, v24
	v_add_u32_e32 v9, 0x1e00, v9
	ds_write2_b32 v9, v10, v8 offset0:120 offset1:180
	s_waitcnt lgkmcnt(0)
	; wave barrier
	s_waitcnt lgkmcnt(0)
	global_load_dwordx4 v[20:23], v19, s[8:9] offset:1400
	v_mul_i32_i24_e32 v8, 5, v2
	v_mov_b32_e32 v9, 0
	v_lshlrev_b64 v[24:25], 2, v[8:9]
	ds_read2_b32 v[10:11], v28 offset1:240
	ds_read2_b32 v[42:43], v36 offset0:124 offset1:184
	ds_read2_b32 v[44:45], v3 offset0:100 offset1:160
	;; [unrolled: 1-line block ×5, first 2 shown]
	v_mov_b32_e32 v40, s9
	v_add_co_u32_e32 v36, vcc, s8, v24
	v_addc_co_u32_e32 v37, vcc, v40, v25, vcc
	ds_read_b32 v72, v16
	ds_read_b32 v73, v15
	;; [unrolled: 1-line block ×3, first 2 shown]
	global_load_dwordx4 v[24:27], v[36:37], off offset:1400
	v_mul_i32_i24_e32 v8, 5, v7
	ds_read2_b32 v[50:51], v32 offset0:164 offset1:224
	ds_read2_b32 v[52:53], v1 offset0:12 offset1:72
	;; [unrolled: 1-line block ×5, first 2 shown]
	v_lshlrev_b64 v[34:35], 2, v[8:9]
	s_waitcnt lgkmcnt(9)
	v_lshrrev_b32_e32 v107, 16, v13
	v_add_co_u32_e32 v38, vcc, s8, v34
	v_addc_co_u32_e32 v39, vcc, v40, v35, vcc
	v_mul_i32_i24_e32 v8, 5, v6
	global_load_dword v88, v19, s[8:9] offset:1416
	global_load_dword v89, v[36:37], off offset:1416
	ds_read2_b32 v[60:61], v30 offset0:28 offset1:88
	global_load_dwordx4 v[34:37], v[38:39], off offset:1400
	ds_read2_b32 v[62:63], v1 offset0:132 offset1:192
	ds_read2_b32 v[64:65], v18 offset0:108 offset1:168
	;; [unrolled: 1-line block ×4, first 2 shown]
	v_lshlrev_b64 v[18:19], 2, v[8:9]
	v_lshrrev_b32_e32 v69, 16, v43
	v_add_co_u32_e32 v18, vcc, s8, v18
	v_addc_co_u32_e32 v19, vcc, v40, v19, vcc
	v_lshlrev_b32_e32 v111, 2, v17
	global_load_dword v98, v[38:39], off offset:1416
	global_load_dword v109, v[18:19], off offset:1416
	v_lshrrev_b32_e32 v70, 16, v45
	global_load_dwordx4 v[38:41], v[18:19], off offset:1400
	s_waitcnt lgkmcnt(9)
	v_lshrrev_b32_e32 v76, 16, v50
	s_waitcnt lgkmcnt(8)
	v_lshrrev_b32_e32 v77, 16, v52
	;; [unrolled: 2-line block ×4, first 2 shown]
	v_lshrrev_b32_e32 v82, 16, v51
	s_waitcnt lgkmcnt(4)
	v_lshrrev_b32_e32 v96, 16, v61
	s_waitcnt lgkmcnt(3)
	v_lshrrev_b32_e32 v97, 16, v63
	s_waitcnt lgkmcnt(2)
	v_lshrrev_b32_e32 v8, 16, v65
	s_waitcnt lgkmcnt(1)
	v_lshrrev_b32_e32 v99, 16, v67
	v_lshrrev_b32_e32 v102, 16, v48
	;; [unrolled: 1-line block ×3, first 2 shown]
	ds_read_b32 v106, v28 offset:8400
	v_lshrrev_b32_e32 v104, 16, v44
	s_waitcnt lgkmcnt(1)
	v_lshrrev_b32_e32 v100, 16, v33
	v_lshrrev_b32_e32 v105, 16, v46
	;; [unrolled: 1-line block ×19, first 2 shown]
	s_add_u32 s6, s8, 0x2198
	s_addc_u32 s7, s9, 0
	v_cmp_ne_u32_e32 vcc, 0, v0
	s_waitcnt vmcnt(7)
	v_mul_f16_sdwa v108, v20, v107 dst_sel:DWORD dst_unused:UNUSED_PAD src0_sel:WORD_1 src1_sel:DWORD
	v_fma_f16 v108, v20, v13, v108
	v_mul_f16_sdwa v13, v20, v13 dst_sel:DWORD dst_unused:UNUSED_PAD src0_sel:WORD_1 src1_sel:DWORD
	v_fma_f16 v13, v20, v107, -v13
	v_lshrrev_b32_e32 v107, 16, v49
	v_mul_f16_sdwa v110, v21, v107 dst_sel:DWORD dst_unused:UNUSED_PAD src0_sel:WORD_1 src1_sel:DWORD
	v_fma_f16 v110, v21, v49, v110
	v_mul_f16_sdwa v49, v21, v49 dst_sel:DWORD dst_unused:UNUSED_PAD src0_sel:WORD_1 src1_sel:DWORD
	global_load_dwordx4 v[17:20], v111, s[8:9] offset:1400
	v_fma_f16 v49, v21, v107, -v49
	v_mul_f16_sdwa v21, v69, v22 dst_sel:DWORD dst_unused:UNUSED_PAD src0_sel:DWORD src1_sel:WORD_1
	v_fma_f16 v107, v43, v22, v21
	v_mul_f16_sdwa v21, v43, v22 dst_sel:DWORD dst_unused:UNUSED_PAD src0_sel:DWORD src1_sel:WORD_1
	v_fma_f16 v43, v69, v22, -v21
	v_mul_f16_sdwa v21, v70, v23 dst_sel:DWORD dst_unused:UNUSED_PAD src0_sel:DWORD src1_sel:WORD_1
	v_fma_f16 v69, v45, v23, v21
	v_mul_f16_sdwa v21, v45, v23 dst_sel:DWORD dst_unused:UNUSED_PAD src0_sel:DWORD src1_sel:WORD_1
	v_fma_f16 v45, v70, v23, -v21
	s_waitcnt vmcnt(7)
	v_mul_f16_sdwa v21, v76, v24 dst_sel:DWORD dst_unused:UNUSED_PAD src0_sel:DWORD src1_sel:WORD_1
	v_fma_f16 v70, v50, v24, v21
	v_mul_f16_sdwa v21, v50, v24 dst_sel:DWORD dst_unused:UNUSED_PAD src0_sel:DWORD src1_sel:WORD_1
	v_fma_f16 v50, v76, v24, -v21
	global_load_dword v76, v111, s[8:9] offset:1416
	v_mul_f16_sdwa v21, v77, v25 dst_sel:DWORD dst_unused:UNUSED_PAD src0_sel:DWORD src1_sel:WORD_1
	v_fma_f16 v112, v52, v25, v21
	global_load_dwordx4 v[21:24], v111, s[8:9] offset:2600
	v_mul_f16_sdwa v52, v52, v25 dst_sel:DWORD dst_unused:UNUSED_PAD src0_sel:DWORD src1_sel:WORD_1
	v_fma_f16 v25, v77, v25, -v52
	v_mul_f16_sdwa v52, v78, v26 dst_sel:DWORD dst_unused:UNUSED_PAD src0_sel:DWORD src1_sel:WORD_1
	v_fma_f16 v52, v54, v26, v52
	v_mul_f16_sdwa v54, v54, v26 dst_sel:DWORD dst_unused:UNUSED_PAD src0_sel:DWORD src1_sel:WORD_1
	v_fma_f16 v26, v78, v26, -v54
	global_load_dword v78, v111, s[8:9] offset:2616
	v_mul_f16_sdwa v54, v56, v27 dst_sel:DWORD dst_unused:UNUSED_PAD src0_sel:DWORD src1_sel:WORD_1
	v_fma_f16 v54, v79, v27, -v54
	v_mul_f16_sdwa v77, v79, v27 dst_sel:DWORD dst_unused:UNUSED_PAD src0_sel:DWORD src1_sel:WORD_1
	s_waitcnt vmcnt(7)
	v_mul_f16_sdwa v79, v82, v34 dst_sel:DWORD dst_unused:UNUSED_PAD src0_sel:DWORD src1_sel:WORD_1
	v_fma_f16 v79, v51, v34, v79
	v_mul_f16_sdwa v51, v51, v34 dst_sel:DWORD dst_unused:UNUSED_PAD src0_sel:DWORD src1_sel:WORD_1
	v_fma_f16 v34, v82, v34, -v51
	v_fma_f16 v27, v56, v27, v77
	s_waitcnt lgkmcnt(0)
	v_lshrrev_b32_e32 v56, 16, v106
	v_mul_f16_sdwa v51, v83, v35 dst_sel:DWORD dst_unused:UNUSED_PAD src0_sel:DWORD src1_sel:WORD_1
	v_fma_f16 v51, v53, v35, v51
	v_mul_f16_sdwa v53, v53, v35 dst_sel:DWORD dst_unused:UNUSED_PAD src0_sel:DWORD src1_sel:WORD_1
	v_mul_f16_sdwa v77, v71, v88 dst_sel:DWORD dst_unused:UNUSED_PAD src0_sel:DWORD src1_sel:WORD_1
	v_fma_f16 v35, v83, v35, -v53
	v_mul_f16_sdwa v53, v84, v36 dst_sel:DWORD dst_unused:UNUSED_PAD src0_sel:DWORD src1_sel:WORD_1
	v_fma_f16 v77, v47, v88, v77
	v_mul_f16_sdwa v47, v47, v88 dst_sel:DWORD dst_unused:UNUSED_PAD src0_sel:DWORD src1_sel:WORD_1
	v_fma_f16 v53, v55, v36, v53
	v_mul_f16_sdwa v55, v55, v36 dst_sel:DWORD dst_unused:UNUSED_PAD src0_sel:DWORD src1_sel:WORD_1
	v_fma_f16 v47, v71, v88, -v47
	v_fma_f16 v36, v84, v36, -v55
	v_mul_f16_sdwa v55, v85, v37 dst_sel:DWORD dst_unused:UNUSED_PAD src0_sel:DWORD src1_sel:WORD_1
	v_fma_f16 v55, v57, v37, v55
	v_mul_f16_sdwa v57, v57, v37 dst_sel:DWORD dst_unused:UNUSED_PAD src0_sel:DWORD src1_sel:WORD_1
	v_sub_f16_e32 v84, v43, v47
	v_fma_f16 v37, v85, v37, -v57
	v_mul_f16_sdwa v71, v80, v89 dst_sel:DWORD dst_unused:UNUSED_PAD src0_sel:DWORD src1_sel:WORD_1
	v_fma_f16 v71, v58, v89, v71
	v_mul_f16_sdwa v58, v58, v89 dst_sel:DWORD dst_unused:UNUSED_PAD src0_sel:DWORD src1_sel:WORD_1
	v_fma_f16 v58, v80, v89, -v58
	s_waitcnt vmcnt(6)
	v_mul_f16_sdwa v57, v86, v98 dst_sel:DWORD dst_unused:UNUSED_PAD src0_sel:DWORD src1_sel:WORD_1
	s_waitcnt vmcnt(4)
	v_mul_f16_sdwa v80, v90, v38 dst_sel:DWORD dst_unused:UNUSED_PAD src0_sel:DWORD src1_sel:WORD_1
	v_fma_f16 v57, v59, v98, v57
	v_mul_f16_sdwa v59, v59, v98 dst_sel:DWORD dst_unused:UNUSED_PAD src0_sel:DWORD src1_sel:WORD_1
	v_fma_f16 v80, v60, v38, v80
	v_mul_f16_sdwa v60, v60, v38 dst_sel:DWORD dst_unused:UNUSED_PAD src0_sel:DWORD src1_sel:WORD_1
	v_fma_f16 v59, v86, v98, -v59
	v_fma_f16 v38, v90, v38, -v60
	v_mul_f16_sdwa v60, v91, v39 dst_sel:DWORD dst_unused:UNUSED_PAD src0_sel:DWORD src1_sel:WORD_1
	v_fma_f16 v60, v62, v39, v60
	v_mul_f16_sdwa v62, v62, v39 dst_sel:DWORD dst_unused:UNUSED_PAD src0_sel:DWORD src1_sel:WORD_1
	v_fma_f16 v39, v91, v39, -v62
	v_mul_f16_sdwa v62, v92, v40 dst_sel:DWORD dst_unused:UNUSED_PAD src0_sel:DWORD src1_sel:WORD_1
	v_fma_f16 v62, v64, v40, v62
	v_mul_f16_sdwa v64, v64, v40 dst_sel:DWORD dst_unused:UNUSED_PAD src0_sel:DWORD src1_sel:WORD_1
	;; [unrolled: 4-line block ×4, first 2 shown]
	v_fma_f16 v32, v94, v109, -v32
	s_waitcnt vmcnt(3)
	v_mul_f16_sdwa v82, v96, v17 dst_sel:DWORD dst_unused:UNUSED_PAD src0_sel:DWORD src1_sel:WORD_1
	v_fma_f16 v82, v61, v17, v82
	v_mul_f16_sdwa v61, v61, v17 dst_sel:DWORD dst_unused:UNUSED_PAD src0_sel:DWORD src1_sel:WORD_1
	v_fma_f16 v17, v96, v17, -v61
	v_mul_f16_sdwa v61, v97, v18 dst_sel:DWORD dst_unused:UNUSED_PAD src0_sel:DWORD src1_sel:WORD_1
	v_fma_f16 v61, v63, v18, v61
	v_mul_f16_sdwa v63, v63, v18 dst_sel:DWORD dst_unused:UNUSED_PAD src0_sel:DWORD src1_sel:WORD_1
	v_fma_f16 v18, v97, v18, -v63
	;; [unrolled: 4-line block ×4, first 2 shown]
	s_waitcnt vmcnt(2)
	v_mul_f16_sdwa v65, v100, v76 dst_sel:DWORD dst_unused:UNUSED_PAD src0_sel:DWORD src1_sel:WORD_1
	s_waitcnt vmcnt(1)
	v_mul_f16_sdwa v67, v102, v21 dst_sel:DWORD dst_unused:UNUSED_PAD src0_sel:DWORD src1_sel:WORD_1
	v_fma_f16 v67, v48, v21, v67
	v_mul_f16_sdwa v48, v48, v21 dst_sel:DWORD dst_unused:UNUSED_PAD src0_sel:DWORD src1_sel:WORD_1
	v_fma_f16 v21, v102, v21, -v48
	v_mul_f16_sdwa v48, v103, v22 dst_sel:DWORD dst_unused:UNUSED_PAD src0_sel:DWORD src1_sel:WORD_1
	v_fma_f16 v48, v42, v22, v48
	v_mul_f16_sdwa v42, v42, v22 dst_sel:DWORD dst_unused:UNUSED_PAD src0_sel:DWORD src1_sel:WORD_1
	v_fma_f16 v22, v103, v22, -v42
	;; [unrolled: 4-line block ×3, first 2 shown]
	v_mul_f16_sdwa v44, v105, v24 dst_sel:DWORD dst_unused:UNUSED_PAD src0_sel:DWORD src1_sel:WORD_1
	v_fma_f16 v65, v33, v76, v65
	v_mul_f16_sdwa v33, v33, v76 dst_sel:DWORD dst_unused:UNUSED_PAD src0_sel:DWORD src1_sel:WORD_1
	v_fma_f16 v44, v46, v24, v44
	v_mul_f16_sdwa v46, v46, v24 dst_sel:DWORD dst_unused:UNUSED_PAD src0_sel:DWORD src1_sel:WORD_1
	v_fma_f16 v33, v100, v76, -v33
	v_fma_f16 v24, v105, v24, -v46
	s_waitcnt vmcnt(0)
	v_mul_f16_sdwa v46, v56, v78 dst_sel:DWORD dst_unused:UNUSED_PAD src0_sel:DWORD src1_sel:WORD_1
	v_mul_f16_sdwa v76, v106, v78 dst_sel:DWORD dst_unused:UNUSED_PAD src0_sel:DWORD src1_sel:WORD_1
	v_fma_f16 v46, v106, v78, v46
	v_fma_f16 v56, v56, v78, -v76
	v_add_f16_e32 v78, v110, v69
	v_add_f16_e32 v76, v10, v110
	v_fma_f16 v10, v78, -0.5, v10
	v_sub_f16_e32 v78, v49, v45
	v_fma_f16 v83, v78, s5, v10
	v_fma_f16 v10, v78, s4, v10
	v_add_f16_e32 v78, v68, v49
	v_add_f16_e32 v76, v76, v69
	;; [unrolled: 1-line block ×4, first 2 shown]
	v_sub_f16_e32 v49, v110, v69
	v_add_f16_e32 v69, v107, v77
	v_fma_f16 v69, v69, -0.5, v108
	v_fma_f16 v85, v84, s5, v69
	v_fma_f16 v69, v84, s4, v69
	v_add_f16_e32 v84, v13, v43
	v_add_f16_e32 v43, v43, v47
	v_fma_f16 v45, v45, -0.5, v68
	v_fma_f16 v13, v43, -0.5, v13
	v_sub_f16_e32 v43, v107, v77
	v_fma_f16 v68, v49, s4, v45
	v_fma_f16 v45, v49, s5, v45
	v_add_f16_e32 v49, v108, v107
	v_add_f16_e32 v84, v84, v47
	v_fma_f16 v47, v43, s4, v13
	v_add_f16_e32 v49, v49, v77
	v_fma_f16 v13, v43, s5, v13
	v_mul_f16_e32 v77, 0xbaee, v47
	v_mul_f16_e32 v47, 0.5, v47
	v_mul_f16_e32 v88, 0xbaee, v13
	v_fma_f16 v47, v85, s4, v47
	v_mul_f16_e32 v13, -0.5, v13
	v_fma_f16 v77, v85, 0.5, v77
	v_add_f16_e32 v85, v68, v47
	v_fma_f16 v13, v69, s4, v13
	v_sub_f16_e32 v47, v68, v47
	v_add_f16_e32 v68, v112, v27
	v_fma_f16 v88, v69, -0.5, v88
	v_add_f16_e32 v69, v45, v13
	v_sub_f16_e32 v13, v45, v13
	v_add_f16_e32 v45, v72, v112
	v_fma_f16 v68, v68, -0.5, v72
	v_sub_f16_e32 v72, v25, v54
	v_add_f16_e32 v43, v76, v49
	v_add_f16_e32 v86, v83, v77
	;; [unrolled: 1-line block ×3, first 2 shown]
	v_sub_f16_e32 v49, v76, v49
	v_sub_f16_e32 v76, v83, v77
	;; [unrolled: 1-line block ×3, first 2 shown]
	v_fma_f16 v78, v72, s5, v68
	v_fma_f16 v68, v72, s4, v68
	v_add_f16_e32 v72, v75, v25
	v_add_f16_e32 v25, v25, v54
	;; [unrolled: 1-line block ×3, first 2 shown]
	v_fma_f16 v25, v25, -0.5, v75
	v_sub_f16_e32 v27, v112, v27
	v_add_f16_e32 v75, v52, v71
	v_add_f16_e32 v72, v72, v54
	v_fma_f16 v54, v27, s4, v25
	v_fma_f16 v25, v27, s5, v25
	v_add_f16_e32 v27, v70, v52
	v_fma_f16 v70, v75, -0.5, v70
	v_sub_f16_e32 v75, v26, v58
	v_fma_f16 v83, v75, s5, v70
	v_fma_f16 v70, v75, s4, v70
	v_add_f16_e32 v75, v50, v26
	v_add_f16_e32 v26, v26, v58
	v_fma_f16 v26, v26, -0.5, v50
	v_sub_f16_e32 v50, v52, v71
	v_fma_f16 v52, v50, s4, v26
	v_add_f16_e32 v75, v75, v58
	v_fma_f16 v26, v50, s5, v26
	v_mul_f16_e32 v58, 0xbaee, v52
	v_mul_f16_e32 v52, 0.5, v52
	v_mul_f16_e32 v84, 0xbaee, v26
	v_fma_f16 v52, v83, s4, v52
	v_add_f16_e32 v27, v27, v71
	v_fma_f16 v58, v83, 0.5, v58
	v_fma_f16 v84, v70, -0.5, v84
	v_add_f16_e32 v83, v54, v52
	v_mul_f16_e32 v26, -0.5, v26
	v_sub_f16_e32 v52, v54, v52
	v_add_f16_e32 v54, v51, v55
	v_add_f16_e32 v89, v10, v88
	v_sub_f16_e32 v10, v10, v88
	v_add_f16_e32 v50, v45, v27
	v_add_f16_e32 v71, v78, v58
	;; [unrolled: 1-line block ×4, first 2 shown]
	v_fma_f16 v26, v70, s4, v26
	v_sub_f16_e32 v27, v45, v27
	v_sub_f16_e32 v45, v78, v58
	;; [unrolled: 1-line block ×4, first 2 shown]
	v_fma_f16 v54, v54, -0.5, v73
	v_sub_f16_e32 v72, v35, v37
	v_add_f16_e32 v70, v25, v26
	v_sub_f16_e32 v25, v25, v26
	v_add_f16_e32 v26, v73, v51
	v_fma_f16 v73, v72, s5, v54
	v_fma_f16 v54, v72, s4, v54
	v_add_f16_e32 v72, v81, v35
	v_add_f16_e32 v26, v26, v55
	;; [unrolled: 1-line block ×4, first 2 shown]
	v_sub_f16_e32 v37, v51, v55
	v_add_f16_e32 v55, v53, v57
	v_fma_f16 v55, v55, -0.5, v79
	v_sub_f16_e32 v75, v36, v59
	v_fma_f16 v78, v75, s5, v55
	v_fma_f16 v55, v75, s4, v55
	v_add_f16_e32 v75, v34, v36
	v_add_f16_e32 v36, v36, v59
	v_fma_f16 v35, v35, -0.5, v81
	v_fma_f16 v34, v36, -0.5, v34
	v_sub_f16_e32 v36, v53, v57
	v_fma_f16 v51, v37, s4, v35
	v_fma_f16 v35, v37, s5, v35
	v_add_f16_e32 v37, v79, v53
	v_fma_f16 v53, v36, s4, v34
	v_add_f16_e32 v37, v37, v57
	v_mul_f16_e32 v57, 0xbaee, v53
	v_mul_f16_e32 v53, 0.5, v53
	v_fma_f16 v34, v36, s5, v34
	v_fma_f16 v53, v78, s4, v53
	v_add_f16_e32 v75, v75, v59
	v_fma_f16 v57, v78, 0.5, v57
	v_mul_f16_e32 v79, 0xbaee, v34
	v_add_f16_e32 v78, v51, v53
	v_mul_f16_e32 v34, -0.5, v34
	v_sub_f16_e32 v51, v51, v53
	v_add_f16_e32 v53, v60, v64
	v_add_f16_e32 v36, v26, v37
	;; [unrolled: 1-line block ×4, first 2 shown]
	v_fma_f16 v34, v55, s4, v34
	v_sub_f16_e32 v26, v26, v37
	v_sub_f16_e32 v37, v73, v57
	;; [unrolled: 1-line block ×3, first 2 shown]
	v_fma_f16 v53, v53, -0.5, v74
	v_sub_f16_e32 v72, v39, v41
	v_fma_f16 v79, v55, -0.5, v79
	v_add_f16_e32 v55, v35, v34
	v_sub_f16_e32 v34, v35, v34
	v_add_f16_e32 v35, v74, v60
	v_fma_f16 v73, v72, s5, v53
	v_fma_f16 v53, v72, s4, v53
	v_add_f16_e32 v72, v87, v39
	v_add_f16_e32 v35, v35, v64
	;; [unrolled: 1-line block ×4, first 2 shown]
	v_sub_f16_e32 v41, v60, v64
	v_add_f16_e32 v64, v62, v66
	v_fma_f16 v64, v64, -0.5, v80
	v_sub_f16_e32 v74, v40, v32
	v_fma_f16 v75, v74, s5, v64
	v_fma_f16 v64, v74, s4, v64
	v_add_f16_e32 v74, v38, v40
	v_add_f16_e32 v74, v74, v32
	;; [unrolled: 1-line block ×3, first 2 shown]
	v_fma_f16 v32, v32, -0.5, v38
	v_sub_f16_e32 v38, v62, v66
	v_fma_f16 v40, v38, s4, v32
	v_fma_f16 v32, v38, s5, v32
	v_add_f16_e32 v81, v54, v79
	v_sub_f16_e32 v54, v54, v79
	v_fma_f16 v39, v39, -0.5, v87
	v_mul_f16_e32 v79, 0xbaee, v32
	v_mul_f16_e32 v32, -0.5, v32
	v_fma_f16 v60, v41, s4, v39
	v_fma_f16 v39, v41, s5, v39
	v_add_f16_e32 v41, v80, v62
	v_mul_f16_e32 v62, 0xbaee, v40
	v_mul_f16_e32 v40, 0.5, v40
	v_fma_f16 v32, v64, s4, v32
	v_fma_f16 v79, v64, -0.5, v79
	v_fma_f16 v40, v75, s4, v40
	v_add_f16_e32 v64, v39, v32
	v_sub_f16_e32 v32, v39, v32
	v_add_f16_e32 v39, v11, v61
	v_add_f16_e32 v41, v41, v66
	v_fma_f16 v62, v75, 0.5, v62
	v_add_f16_e32 v75, v60, v40
	v_sub_f16_e32 v40, v60, v40
	v_add_f16_e32 v39, v39, v19
	v_add_f16_e32 v60, v61, v19
	v_sub_f16_e32 v19, v61, v19
	v_add_f16_e32 v61, v63, v65
	v_add_f16_e32 v38, v35, v41
	;; [unrolled: 1-line block ×3, first 2 shown]
	v_sub_f16_e32 v35, v35, v41
	v_sub_f16_e32 v41, v73, v62
	v_fma_f16 v61, v61, -0.5, v82
	v_sub_f16_e32 v73, v8, v33
	v_add_f16_e32 v87, v72, v74
	v_sub_f16_e32 v62, v72, v74
	v_fma_f16 v11, v60, -0.5, v11
	v_sub_f16_e32 v60, v18, v20
	v_fma_f16 v74, v73, s5, v61
	v_fma_f16 v61, v73, s4, v61
	v_add_f16_e32 v73, v17, v8
	v_add_f16_e32 v8, v8, v33
	v_fma_f16 v72, v60, s5, v11
	v_fma_f16 v11, v60, s4, v11
	v_add_f16_e32 v60, v95, v18
	v_add_f16_e32 v18, v18, v20
	v_fma_f16 v8, v8, -0.5, v17
	v_sub_f16_e32 v17, v63, v65
	v_fma_f16 v18, v18, -0.5, v95
	v_add_f16_e32 v73, v73, v33
	v_fma_f16 v33, v17, s4, v8
	v_add_f16_e32 v60, v60, v20
	v_fma_f16 v20, v19, s4, v18
	v_fma_f16 v18, v19, s5, v18
	v_add_f16_e32 v19, v82, v63
	v_fma_f16 v8, v17, s5, v8
	v_mul_f16_e32 v63, 0xbaee, v33
	v_mul_f16_e32 v33, 0.5, v33
	v_add_f16_e32 v80, v53, v79
	v_sub_f16_e32 v53, v53, v79
	v_mul_f16_e32 v79, 0xbaee, v8
	v_fma_f16 v33, v74, s4, v33
	v_mul_f16_e32 v8, -0.5, v8
	v_fma_f16 v63, v74, 0.5, v63
	v_add_f16_e32 v74, v20, v33
	v_fma_f16 v8, v61, s4, v8
	v_sub_f16_e32 v20, v20, v33
	v_add_f16_e32 v33, v48, v44
	v_add_f16_e32 v19, v19, v65
	v_fma_f16 v79, v61, -0.5, v79
	v_add_f16_e32 v61, v18, v8
	v_sub_f16_e32 v8, v18, v8
	v_add_f16_e32 v18, v12, v48
	v_fma_f16 v12, v33, -0.5, v12
	v_sub_f16_e32 v33, v22, v24
	v_add_f16_e32 v17, v39, v19
	v_add_f16_e32 v65, v72, v63
	v_sub_f16_e32 v19, v39, v19
	v_sub_f16_e32 v39, v72, v63
	v_fma_f16 v63, v33, s5, v12
	v_fma_f16 v12, v33, s4, v12
	v_add_f16_e32 v33, v101, v22
	v_add_f16_e32 v22, v22, v24
	;; [unrolled: 1-line block ×3, first 2 shown]
	v_fma_f16 v22, v22, -0.5, v101
	v_sub_f16_e32 v24, v48, v44
	v_add_f16_e32 v48, v42, v46
	v_add_f16_e32 v18, v18, v44
	v_fma_f16 v44, v24, s4, v22
	v_fma_f16 v22, v24, s5, v22
	v_add_f16_e32 v24, v67, v42
	v_fma_f16 v48, v48, -0.5, v67
	v_sub_f16_e32 v67, v23, v56
	v_fma_f16 v72, v67, s5, v48
	v_fma_f16 v48, v67, s4, v48
	v_add_f16_e32 v67, v21, v23
	v_add_f16_e32 v23, v23, v56
	v_fma_f16 v21, v23, -0.5, v21
	v_sub_f16_e32 v23, v42, v46
	v_fma_f16 v42, v23, s4, v21
	v_fma_f16 v21, v23, s5, v21
	v_add_f16_e32 v92, v60, v73
	v_sub_f16_e32 v60, v60, v73
	v_mul_f16_e32 v73, 0xbaee, v21
	v_mul_f16_e32 v21, -0.5, v21
	v_fma_f16 v21, v48, s4, v21
	v_fma_f16 v73, v48, -0.5, v73
	v_add_f16_e32 v48, v22, v21
	v_sub_f16_e32 v21, v22, v21
	v_pack_b32_f16 v22, v43, v90
	; wave barrier
	ds_write_b32 v28, v22
	v_pack_b32_f16 v22, v86, v85
	ds_write_b32 v28, v22 offset:1440
	v_pack_b32_f16 v22, v89, v69
	ds_write_b32 v28, v22 offset:2880
	v_pack_b32_f16 v22, v49, v77
	v_pack_b32_f16 v10, v10, v13
	ds_write_b32 v28, v22 offset:4320
	v_pack_b32_f16 v22, v76, v47
	ds_write_b32 v28, v10 offset:7200
	;; [unrolled: 2-line block ×3, first 2 shown]
	ds_write_b32 v16, v10
	v_pack_b32_f16 v10, v71, v83
	ds_write_b32 v16, v10 offset:1440
	v_pack_b32_f16 v10, v88, v70
	ds_write_b32 v16, v10 offset:2880
	;; [unrolled: 2-line block ×5, first 2 shown]
	v_pack_b32_f16 v10, v36, v84
	ds_write_b32 v15, v10
	v_pack_b32_f16 v10, v59, v78
	ds_write_b32 v15, v10 offset:1440
	v_pack_b32_f16 v10, v81, v55
	ds_write_b32 v15, v10 offset:2880
	;; [unrolled: 2-line block ×5, first 2 shown]
	v_pack_b32_f16 v10, v38, v87
	ds_write_b32 v14, v10
	v_pack_b32_f16 v10, v66, v75
	ds_write_b32 v14, v10 offset:1440
	v_pack_b32_f16 v10, v80, v64
	ds_write_b32 v14, v10 offset:2880
	v_pack_b32_f16 v10, v35, v62
	v_add_f16_e32 v24, v24, v46
	v_add_f16_e32 v67, v67, v56
	v_mul_f16_e32 v46, 0xbaee, v42
	v_mul_f16_e32 v42, 0.5, v42
	ds_write_b32 v14, v10 offset:4320
	v_pack_b32_f16 v10, v41, v40
	v_add_f16_e32 v82, v11, v79
	v_sub_f16_e32 v11, v11, v79
	v_add_f16_e32 v23, v18, v24
	v_fma_f16 v46, v72, 0.5, v46
	v_add_f16_e32 v93, v33, v67
	v_fma_f16 v42, v72, s4, v42
	ds_write_b32 v14, v10 offset:5760
	v_pack_b32_f16 v10, v53, v32
	v_add_f16_e32 v56, v63, v46
	v_add_f16_e32 v72, v44, v42
	ds_write_b32 v14, v10 offset:7200
	v_pack_b32_f16 v10, v17, v92
	v_pack_b32_f16 v8, v11, v8
	;; [unrolled: 1-line block ×3, first 2 shown]
	v_add_f16_e32 v79, v12, v73
	v_pack_b32_f16 v13, v65, v74
	ds_write2_b32 v31, v10, v11 offset0:112 offset1:172
	v_pack_b32_f16 v10, v56, v72
	v_sub_f16_e32 v18, v18, v24
	v_sub_f16_e32 v33, v33, v67
	v_pack_b32_f16 v17, v82, v61
	ds_write2_b32 v30, v13, v10 offset0:88 offset1:148
	v_pack_b32_f16 v10, v79, v48
	v_sub_f16_e32 v24, v63, v46
	v_sub_f16_e32 v42, v44, v42
	v_pack_b32_f16 v19, v19, v60
	ds_write2_b32 v1, v17, v10 offset0:192 offset1:252
	v_pack_b32_f16 v1, v18, v33
	v_sub_f16_e32 v12, v12, v73
	v_pack_b32_f16 v20, v39, v20
	ds_write2_b32 v3, v19, v1 offset0:40 offset1:100
	v_pack_b32_f16 v1, v24, v42
	ds_write2_b32 v29, v20, v1 offset0:144 offset1:204
	v_pack_b32_f16 v1, v12, v21
	v_add_u32_e32 v3, 0x1e00, v28
	ds_write2_b32 v3, v8, v1 offset0:120 offset1:180
	s_waitcnt lgkmcnt(0)
	; wave barrier
	s_waitcnt lgkmcnt(0)
	ds_read_b32 v3, v28
	v_lshlrev_b32_e32 v1, 2, v0
	v_sub_u32_e32 v12, 0, v1
                                        ; implicit-def: $vgpr17
                                        ; implicit-def: $vgpr13
                                        ; implicit-def: $vgpr18
                                        ; implicit-def: $vgpr10_vgpr11
	s_and_saveexec_b64 s[4:5], vcc
	s_xor_b64 s[4:5], exec, s[4:5]
	s_cbranch_execz .LBB0_17
; %bb.16:
	v_mov_b32_e32 v1, v9
	v_lshlrev_b64 v[8:9], 2, v[0:1]
	v_mov_b32_e32 v10, s7
	v_add_co_u32_e32 v8, vcc, s6, v8
	v_addc_co_u32_e32 v9, vcc, v10, v9, vcc
	global_load_dword v8, v[8:9], off
	ds_read_b32 v9, v12 offset:8640
	s_waitcnt lgkmcnt(0)
	v_add_f16_sdwa v11, v9, v3 dst_sel:DWORD dst_unused:UNUSED_PAD src0_sel:WORD_1 src1_sel:WORD_1
	v_sub_f16_e32 v13, v3, v9
	v_add_f16_e32 v10, v9, v3
	v_sub_f16_sdwa v3, v3, v9 dst_sel:DWORD dst_unused:UNUSED_PAD src0_sel:WORD_1 src1_sel:WORD_1
	v_mul_f16_e32 v9, 0.5, v11
	v_mul_f16_e32 v11, 0.5, v13
	;; [unrolled: 1-line block ×3, first 2 shown]
	s_waitcnt vmcnt(0)
	v_lshrrev_b32_e32 v13, 16, v8
	v_mul_f16_e32 v17, v13, v11
	v_fma_f16 v18, v9, v13, v3
	v_fma_f16 v3, v9, v13, -v3
	v_fma_f16 v13, v10, 0.5, v17
	v_fma_f16 v10, v10, 0.5, -v17
	v_fma_f16 v18, -v8, v11, v18
	v_fma_f16 v17, -v8, v11, v3
	v_fma_f16 v3, v8, v9, v13
	v_fma_f16 v13, -v8, v9, v10
	v_mov_b32_e32 v11, v1
	ds_write_b16 v28, v3
	v_mov_b32_e32 v10, v0
                                        ; implicit-def: $vgpr3
.LBB0_17:
	s_andn2_saveexec_b64 s[4:5], s[4:5]
	s_cbranch_execz .LBB0_19
; %bb.18:
	v_mov_b32_e32 v18, 0
	ds_read_u16 v1, v18 offset:4322
	v_mov_b32_e32 v10, 0
	s_waitcnt lgkmcnt(1)
	v_add_f16_sdwa v8, v3, v3 dst_sel:DWORD dst_unused:UNUSED_PAD src0_sel:WORD_1 src1_sel:DWORD
	v_sub_f16_sdwa v13, v3, v3 dst_sel:DWORD dst_unused:UNUSED_PAD src0_sel:DWORD src1_sel:WORD_1
	v_mov_b32_e32 v11, 0
	s_waitcnt lgkmcnt(0)
	v_xor_b32_e32 v1, 0x8000, v1
	v_mov_b32_e32 v17, 0
	ds_write_b16 v28, v8
	ds_write_b16 v18, v1 offset:4322
.LBB0_19:
	s_or_b64 exec, exec, s[4:5]
	s_waitcnt lgkmcnt(0)
	v_mov_b32_e32 v3, 0
	v_lshlrev_b64 v[1:2], 2, v[2:3]
	v_mov_b32_e32 v8, s7
	v_add_co_u32_e32 v1, vcc, s6, v1
	v_addc_co_u32_e32 v2, vcc, v8, v2, vcc
	global_load_dword v9, v[1:2], off
	v_mov_b32_e32 v8, v3
	v_lshlrev_b64 v[1:2], 2, v[7:8]
	v_mov_b32_e32 v19, s7
	v_add_co_u32_e32 v1, vcc, s6, v1
	v_addc_co_u32_e32 v2, vcc, v19, v2, vcc
	global_load_dword v8, v[1:2], off
	v_mov_b32_e32 v7, v3
	v_lshlrev_b64 v[1:2], 2, v[6:7]
	s_mov_b32 s5, 0x5040100
	v_add_co_u32_e32 v1, vcc, s6, v1
	v_addc_co_u32_e32 v2, vcc, v19, v2, vcc
	global_load_dword v19, v[1:2], off
	v_lshlrev_b64 v[1:2], 2, v[10:11]
	v_perm_b32 v6, v17, v13, s5
	ds_write_b16 v28, v18 offset:2
	v_mov_b32_e32 v7, s7
	ds_write_b32 v12, v6 offset:8640
	v_add_co_u32_e32 v6, vcc, s6, v1
	v_addc_co_u32_e32 v7, vcc, v7, v2, vcc
	ds_read_b32 v10, v16
	ds_read_b32 v11, v12 offset:8400
	global_load_dword v13, v[6:7], off offset:960
	global_load_dword v17, v[6:7], off offset:1200
	;; [unrolled: 1-line block ×5, first 2 shown]
	s_mov_b32 s4, 0xffff
	s_waitcnt lgkmcnt(0)
	v_pk_add_f16 v22, v10, v11 neg_lo:[0,1] neg_hi:[0,1]
	v_pk_add_f16 v10, v10, v11
	v_bfi_b32 v11, s4, v22, v10
	v_bfi_b32 v10, s4, v10, v22
	v_pk_mul_f16 v11, v11, 0.5 op_sel_hi:[1,0]
	v_pk_mul_f16 v10, v10, 0.5 op_sel_hi:[1,0]
	s_waitcnt vmcnt(7)
	v_pk_fma_f16 v22, v9, v11, v10 op_sel:[1,0,0]
	v_pk_mul_f16 v23, v9, v11 op_sel_hi:[0,1]
	v_pk_fma_f16 v24, v9, v11, v10 op_sel:[1,0,0] neg_lo:[1,0,0] neg_hi:[1,0,0]
	v_pk_fma_f16 v9, v9, v11, v10 op_sel:[1,0,0] neg_lo:[0,0,1] neg_hi:[0,0,1]
	v_pk_add_f16 v10, v22, v23 op_sel:[0,1] op_sel_hi:[1,0]
	v_pk_add_f16 v11, v22, v23 op_sel:[0,1] op_sel_hi:[1,0] neg_lo:[0,1] neg_hi:[0,1]
	v_pk_add_f16 v22, v24, v23 op_sel:[0,1] op_sel_hi:[1,0] neg_lo:[0,1] neg_hi:[0,1]
	;; [unrolled: 1-line block ×3, first 2 shown]
	v_bfi_b32 v10, s4, v10, v11
	v_bfi_b32 v9, s4, v22, v9
	ds_write_b32 v16, v10
	ds_write_b32 v12, v9 offset:8400
	ds_read_b32 v9, v15
	ds_read_b32 v10, v12 offset:8160
	s_waitcnt lgkmcnt(0)
	v_pk_add_f16 v11, v9, v10 neg_lo:[0,1] neg_hi:[0,1]
	v_pk_add_f16 v9, v9, v10
	v_bfi_b32 v10, s4, v11, v9
	v_bfi_b32 v9, s4, v9, v11
	v_pk_mul_f16 v10, v10, 0.5 op_sel_hi:[1,0]
	v_pk_mul_f16 v9, v9, 0.5 op_sel_hi:[1,0]
	s_waitcnt vmcnt(6)
	v_pk_fma_f16 v11, v8, v10, v9 op_sel:[1,0,0]
	v_pk_mul_f16 v16, v8, v10 op_sel_hi:[0,1]
	v_pk_fma_f16 v22, v8, v10, v9 op_sel:[1,0,0] neg_lo:[1,0,0] neg_hi:[1,0,0]
	v_pk_fma_f16 v8, v8, v10, v9 op_sel:[1,0,0] neg_lo:[0,0,1] neg_hi:[0,0,1]
	v_pk_add_f16 v9, v11, v16 op_sel:[0,1] op_sel_hi:[1,0]
	v_pk_add_f16 v10, v11, v16 op_sel:[0,1] op_sel_hi:[1,0] neg_lo:[0,1] neg_hi:[0,1]
	v_pk_add_f16 v11, v22, v16 op_sel:[0,1] op_sel_hi:[1,0] neg_lo:[0,1] neg_hi:[0,1]
	;; [unrolled: 1-line block ×3, first 2 shown]
	v_bfi_b32 v9, s4, v9, v10
	v_bfi_b32 v8, s4, v11, v8
	ds_write_b32 v15, v9
	ds_write_b32 v12, v8 offset:8160
	ds_read_b32 v8, v14
	ds_read_b32 v9, v12 offset:7920
	s_waitcnt lgkmcnt(0)
	v_pk_add_f16 v10, v8, v9 neg_lo:[0,1] neg_hi:[0,1]
	v_pk_add_f16 v8, v8, v9
	v_bfi_b32 v9, s4, v10, v8
	v_bfi_b32 v8, s4, v8, v10
	v_pk_mul_f16 v9, v9, 0.5 op_sel_hi:[1,0]
	v_pk_mul_f16 v8, v8, 0.5 op_sel_hi:[1,0]
	s_waitcnt vmcnt(5)
	v_pk_fma_f16 v10, v19, v9, v8 op_sel:[1,0,0]
	v_pk_mul_f16 v11, v19, v9 op_sel_hi:[0,1]
	v_pk_fma_f16 v15, v19, v9, v8 op_sel:[1,0,0] neg_lo:[1,0,0] neg_hi:[1,0,0]
	v_pk_fma_f16 v8, v19, v9, v8 op_sel:[1,0,0] neg_lo:[0,0,1] neg_hi:[0,0,1]
	v_pk_add_f16 v9, v10, v11 op_sel:[0,1] op_sel_hi:[1,0]
	v_pk_add_f16 v10, v10, v11 op_sel:[0,1] op_sel_hi:[1,0] neg_lo:[0,1] neg_hi:[0,1]
	v_pk_add_f16 v15, v15, v11 op_sel:[0,1] op_sel_hi:[1,0] neg_lo:[0,1] neg_hi:[0,1]
	;; [unrolled: 1-line block ×3, first 2 shown]
	v_bfi_b32 v9, s4, v9, v10
	v_bfi_b32 v8, s4, v15, v8
	ds_write_b32 v14, v9
	ds_write_b32 v12, v8 offset:7920
	ds_read_b32 v8, v28 offset:960
	ds_read_b32 v9, v12 offset:7680
	s_waitcnt lgkmcnt(0)
	v_pk_add_f16 v10, v8, v9 neg_lo:[0,1] neg_hi:[0,1]
	v_pk_add_f16 v8, v8, v9
	v_bfi_b32 v9, s4, v10, v8
	v_bfi_b32 v8, s4, v8, v10
	v_pk_mul_f16 v9, v9, 0.5 op_sel_hi:[1,0]
	v_pk_mul_f16 v8, v8, 0.5 op_sel_hi:[1,0]
	s_waitcnt vmcnt(4)
	v_pk_fma_f16 v10, v13, v9, v8 op_sel:[1,0,0]
	v_pk_mul_f16 v11, v13, v9 op_sel_hi:[0,1]
	v_pk_fma_f16 v14, v13, v9, v8 op_sel:[1,0,0] neg_lo:[1,0,0] neg_hi:[1,0,0]
	v_pk_fma_f16 v8, v13, v9, v8 op_sel:[1,0,0] neg_lo:[0,0,1] neg_hi:[0,0,1]
	v_pk_add_f16 v9, v10, v11 op_sel:[0,1] op_sel_hi:[1,0]
	v_pk_add_f16 v10, v10, v11 op_sel:[0,1] op_sel_hi:[1,0] neg_lo:[0,1] neg_hi:[0,1]
	v_pk_add_f16 v13, v14, v11 op_sel:[0,1] op_sel_hi:[1,0] neg_lo:[0,1] neg_hi:[0,1]
	;; [unrolled: 1-line block ×3, first 2 shown]
	v_bfi_b32 v9, s4, v9, v10
	v_bfi_b32 v8, s4, v13, v8
	ds_write_b32 v28, v9 offset:960
	ds_write_b32 v12, v8 offset:7680
	ds_read_b32 v8, v28 offset:1200
	ds_read_b32 v9, v12 offset:7440
	s_waitcnt lgkmcnt(0)
	v_pk_add_f16 v10, v8, v9 neg_lo:[0,1] neg_hi:[0,1]
	v_pk_add_f16 v8, v8, v9
	v_bfi_b32 v9, s4, v10, v8
	v_bfi_b32 v8, s4, v8, v10
	v_pk_mul_f16 v9, v9, 0.5 op_sel_hi:[1,0]
	v_pk_mul_f16 v8, v8, 0.5 op_sel_hi:[1,0]
	s_waitcnt vmcnt(3)
	v_pk_fma_f16 v10, v17, v9, v8 op_sel:[1,0,0]
	v_pk_mul_f16 v11, v17, v9 op_sel_hi:[0,1]
	v_pk_fma_f16 v13, v17, v9, v8 op_sel:[1,0,0] neg_lo:[1,0,0] neg_hi:[1,0,0]
	v_pk_fma_f16 v8, v17, v9, v8 op_sel:[1,0,0] neg_lo:[0,0,1] neg_hi:[0,0,1]
	v_pk_add_f16 v14, v10, v11 op_sel:[0,1] op_sel_hi:[1,0]
	v_pk_add_f16 v10, v10, v11 op_sel:[0,1] op_sel_hi:[1,0] neg_lo:[0,1] neg_hi:[0,1]
	v_pk_add_f16 v13, v13, v11 op_sel:[0,1] op_sel_hi:[1,0] neg_lo:[0,1] neg_hi:[0,1]
	;; [unrolled: 1-line block ×3, first 2 shown]
	v_bfi_b32 v10, s4, v14, v10
	v_bfi_b32 v8, s4, v13, v8
	ds_write_b32 v28, v10 offset:1200
	ds_write_b32 v12, v8 offset:7440
	ds_read_b32 v8, v28 offset:1440
	ds_read_b32 v9, v12 offset:7200
	s_waitcnt lgkmcnt(0)
	v_pk_add_f16 v10, v8, v9 neg_lo:[0,1] neg_hi:[0,1]
	v_pk_add_f16 v8, v8, v9
	v_bfi_b32 v9, s4, v10, v8
	v_bfi_b32 v8, s4, v8, v10
	global_load_dword v10, v[6:7], off offset:2160
	v_pk_mul_f16 v9, v9, 0.5 op_sel_hi:[1,0]
	v_pk_mul_f16 v8, v8, 0.5 op_sel_hi:[1,0]
	s_waitcnt vmcnt(3)
	v_pk_fma_f16 v11, v18, v9, v8 op_sel:[1,0,0]
	v_pk_mul_f16 v13, v18, v9 op_sel_hi:[0,1]
	v_pk_add_f16 v14, v11, v13 op_sel:[0,1] op_sel_hi:[1,0]
	v_pk_add_f16 v11, v11, v13 op_sel:[0,1] op_sel_hi:[1,0] neg_lo:[0,1] neg_hi:[0,1]
	v_bfi_b32 v11, s4, v14, v11
	ds_write_b32 v28, v11 offset:1440
	v_pk_fma_f16 v11, v18, v9, v8 op_sel:[1,0,0] neg_lo:[1,0,0] neg_hi:[1,0,0]
	v_pk_fma_f16 v8, v18, v9, v8 op_sel:[1,0,0] neg_lo:[0,0,1] neg_hi:[0,0,1]
	v_pk_add_f16 v11, v11, v13 op_sel:[0,1] op_sel_hi:[1,0] neg_lo:[0,1] neg_hi:[0,1]
	v_pk_add_f16 v8, v8, v13 op_sel:[0,1] op_sel_hi:[1,0] neg_lo:[0,1] neg_hi:[0,1]
	v_bfi_b32 v8, s4, v11, v8
	ds_write_b32 v12, v8 offset:7200
	ds_read_b32 v8, v28 offset:1680
	ds_read_b32 v9, v12 offset:6960
	s_waitcnt lgkmcnt(0)
	v_pk_add_f16 v11, v8, v9 neg_lo:[0,1] neg_hi:[0,1]
	v_pk_add_f16 v8, v8, v9
	v_bfi_b32 v9, s4, v11, v8
	v_bfi_b32 v8, s4, v8, v11
	global_load_dword v11, v[6:7], off offset:2400
	v_pk_mul_f16 v9, v9, 0.5 op_sel_hi:[1,0]
	v_pk_mul_f16 v8, v8, 0.5 op_sel_hi:[1,0]
	s_waitcnt vmcnt(3)
	v_pk_fma_f16 v13, v20, v9, v8 op_sel:[1,0,0]
	v_pk_mul_f16 v14, v20, v9 op_sel_hi:[0,1]
	v_pk_add_f16 v15, v13, v14 op_sel:[0,1] op_sel_hi:[1,0]
	v_pk_add_f16 v13, v13, v14 op_sel:[0,1] op_sel_hi:[1,0] neg_lo:[0,1] neg_hi:[0,1]
	v_bfi_b32 v13, s4, v15, v13
	ds_write_b32 v28, v13 offset:1680
	v_pk_fma_f16 v13, v20, v9, v8 op_sel:[1,0,0] neg_lo:[1,0,0] neg_hi:[1,0,0]
	v_pk_fma_f16 v8, v20, v9, v8 op_sel:[1,0,0] neg_lo:[0,0,1] neg_hi:[0,0,1]
	v_pk_add_f16 v13, v13, v14 op_sel:[0,1] op_sel_hi:[1,0] neg_lo:[0,1] neg_hi:[0,1]
	v_pk_add_f16 v8, v8, v14 op_sel:[0,1] op_sel_hi:[1,0] neg_lo:[0,1] neg_hi:[0,1]
	v_bfi_b32 v8, s4, v13, v8
	;; [unrolled: 23-line block ×3, first 2 shown]
	ds_write_b32 v12, v8 offset:6720
	ds_read_b32 v8, v28 offset:2160
	ds_read_b32 v9, v12 offset:6480
	global_load_dword v15, v[6:7], off offset:2880
	s_waitcnt lgkmcnt(0)
	v_pk_add_f16 v14, v8, v9 neg_lo:[0,1] neg_hi:[0,1]
	v_pk_add_f16 v8, v8, v9
	v_bfi_b32 v9, s4, v14, v8
	v_bfi_b32 v8, s4, v8, v14
	global_load_dword v14, v[6:7], off offset:3120
	global_load_dword v16, v[6:7], off offset:3360
	;; [unrolled: 1-line block ×4, first 2 shown]
	v_pk_mul_f16 v9, v9, 0.5 op_sel_hi:[1,0]
	v_pk_mul_f16 v8, v8, 0.5 op_sel_hi:[1,0]
	s_waitcnt vmcnt(7)
	v_pk_fma_f16 v19, v10, v9, v8 op_sel:[1,0,0]
	v_pk_mul_f16 v20, v10, v9 op_sel_hi:[0,1]
	v_pk_add_f16 v21, v19, v20 op_sel:[0,1] op_sel_hi:[1,0]
	v_pk_add_f16 v19, v19, v20 op_sel:[0,1] op_sel_hi:[1,0] neg_lo:[0,1] neg_hi:[0,1]
	v_bfi_b32 v19, s4, v21, v19
	ds_write_b32 v28, v19 offset:2160
	v_pk_fma_f16 v19, v10, v9, v8 op_sel:[1,0,0] neg_lo:[1,0,0] neg_hi:[1,0,0]
	v_pk_fma_f16 v8, v10, v9, v8 op_sel:[1,0,0] neg_lo:[0,0,1] neg_hi:[0,0,1]
	v_pk_add_f16 v19, v19, v20 op_sel:[0,1] op_sel_hi:[1,0] neg_lo:[0,1] neg_hi:[0,1]
	v_pk_add_f16 v8, v8, v20 op_sel:[0,1] op_sel_hi:[1,0] neg_lo:[0,1] neg_hi:[0,1]
	v_bfi_b32 v8, s4, v19, v8
	ds_write_b32 v12, v8 offset:6480
	ds_read_b32 v8, v28 offset:2400
	ds_read_b32 v9, v12 offset:6240
	s_waitcnt lgkmcnt(0)
	v_pk_add_f16 v10, v8, v9 neg_lo:[0,1] neg_hi:[0,1]
	v_pk_add_f16 v8, v8, v9
	v_bfi_b32 v9, s4, v10, v8
	v_bfi_b32 v8, s4, v8, v10
	v_pk_mul_f16 v9, v9, 0.5 op_sel_hi:[1,0]
	v_pk_mul_f16 v8, v8, 0.5 op_sel_hi:[1,0]
	s_waitcnt vmcnt(6)
	v_pk_fma_f16 v10, v11, v9, v8 op_sel:[1,0,0]
	v_pk_mul_f16 v19, v11, v9 op_sel_hi:[0,1]
	v_pk_add_f16 v20, v10, v19 op_sel:[0,1] op_sel_hi:[1,0]
	v_pk_add_f16 v10, v10, v19 op_sel:[0,1] op_sel_hi:[1,0] neg_lo:[0,1] neg_hi:[0,1]
	v_bfi_b32 v10, s4, v20, v10
	ds_write_b32 v28, v10 offset:2400
	v_pk_fma_f16 v10, v11, v9, v8 op_sel:[1,0,0] neg_lo:[1,0,0] neg_hi:[1,0,0]
	v_pk_fma_f16 v8, v11, v9, v8 op_sel:[1,0,0] neg_lo:[0,0,1] neg_hi:[0,0,1]
	v_pk_add_f16 v10, v10, v19 op_sel:[0,1] op_sel_hi:[1,0] neg_lo:[0,1] neg_hi:[0,1]
	v_pk_add_f16 v8, v8, v19 op_sel:[0,1] op_sel_hi:[1,0] neg_lo:[0,1] neg_hi:[0,1]
	v_bfi_b32 v8, s4, v10, v8
	ds_write_b32 v12, v8 offset:6240
	ds_read_b32 v8, v28 offset:2640
	ds_read_b32 v9, v12 offset:6000
	s_waitcnt lgkmcnt(0)
	v_pk_add_f16 v10, v8, v9 neg_lo:[0,1] neg_hi:[0,1]
	v_pk_add_f16 v8, v8, v9
	v_bfi_b32 v9, s4, v10, v8
	v_bfi_b32 v8, s4, v8, v10
	;; [unrolled: 22-line block ×4, first 2 shown]
	v_pk_mul_f16 v9, v9, 0.5 op_sel_hi:[1,0]
	v_pk_mul_f16 v8, v8, 0.5 op_sel_hi:[1,0]
	s_waitcnt vmcnt(3)
	v_pk_fma_f16 v10, v14, v9, v8 op_sel:[1,0,0]
	v_pk_mul_f16 v11, v14, v9 op_sel_hi:[0,1]
	v_pk_add_f16 v13, v10, v11 op_sel:[0,1] op_sel_hi:[1,0]
	v_pk_add_f16 v10, v10, v11 op_sel:[0,1] op_sel_hi:[1,0] neg_lo:[0,1] neg_hi:[0,1]
	v_bfi_b32 v10, s4, v13, v10
	ds_write_b32 v28, v10 offset:3120
	v_pk_fma_f16 v10, v14, v9, v8 op_sel:[1,0,0] neg_lo:[1,0,0] neg_hi:[1,0,0]
	v_pk_fma_f16 v8, v14, v9, v8 op_sel:[1,0,0] neg_lo:[0,0,1] neg_hi:[0,0,1]
	v_pk_add_f16 v10, v10, v11 op_sel:[0,1] op_sel_hi:[1,0] neg_lo:[0,1] neg_hi:[0,1]
	v_pk_add_f16 v8, v8, v11 op_sel:[0,1] op_sel_hi:[1,0] neg_lo:[0,1] neg_hi:[0,1]
	v_bfi_b32 v8, s4, v10, v8
	ds_write_b32 v12, v8 offset:5520
	ds_read_b32 v8, v28 offset:3360
	ds_read_b32 v9, v12 offset:5280
	global_load_dword v6, v[6:7], off offset:4080
	s_waitcnt lgkmcnt(0)
	v_pk_add_f16 v7, v8, v9 neg_lo:[0,1] neg_hi:[0,1]
	v_pk_add_f16 v8, v8, v9
	v_bfi_b32 v9, s4, v7, v8
	v_bfi_b32 v7, s4, v8, v7
	v_pk_mul_f16 v8, v9, 0.5 op_sel_hi:[1,0]
	v_pk_mul_f16 v7, v7, 0.5 op_sel_hi:[1,0]
	s_waitcnt vmcnt(3)
	v_pk_fma_f16 v9, v16, v8, v7 op_sel:[1,0,0]
	v_pk_mul_f16 v10, v16, v8 op_sel_hi:[0,1]
	v_pk_add_f16 v11, v9, v10 op_sel:[0,1] op_sel_hi:[1,0]
	v_pk_add_f16 v9, v9, v10 op_sel:[0,1] op_sel_hi:[1,0] neg_lo:[0,1] neg_hi:[0,1]
	v_bfi_b32 v9, s4, v11, v9
	ds_write_b32 v28, v9 offset:3360
	v_pk_fma_f16 v9, v16, v8, v7 op_sel:[1,0,0] neg_lo:[1,0,0] neg_hi:[1,0,0]
	v_pk_fma_f16 v7, v16, v8, v7 op_sel:[1,0,0] neg_lo:[0,0,1] neg_hi:[0,0,1]
	v_pk_add_f16 v9, v9, v10 op_sel:[0,1] op_sel_hi:[1,0] neg_lo:[0,1] neg_hi:[0,1]
	v_pk_add_f16 v7, v7, v10 op_sel:[0,1] op_sel_hi:[1,0] neg_lo:[0,1] neg_hi:[0,1]
	v_bfi_b32 v7, s4, v9, v7
	ds_write_b32 v12, v7 offset:5280
	ds_read_b32 v7, v28 offset:3600
	ds_read_b32 v8, v12 offset:5040
	s_waitcnt lgkmcnt(0)
	v_pk_add_f16 v9, v7, v8 neg_lo:[0,1] neg_hi:[0,1]
	v_pk_add_f16 v7, v7, v8
	v_bfi_b32 v8, s4, v9, v7
	v_bfi_b32 v7, s4, v7, v9
	v_pk_mul_f16 v8, v8, 0.5 op_sel_hi:[1,0]
	v_pk_mul_f16 v7, v7, 0.5 op_sel_hi:[1,0]
	s_waitcnt vmcnt(2)
	v_pk_fma_f16 v9, v17, v8, v7 op_sel:[1,0,0]
	v_pk_mul_f16 v10, v17, v8 op_sel_hi:[0,1]
	v_pk_add_f16 v11, v9, v10 op_sel:[0,1] op_sel_hi:[1,0]
	v_pk_add_f16 v9, v9, v10 op_sel:[0,1] op_sel_hi:[1,0] neg_lo:[0,1] neg_hi:[0,1]
	v_bfi_b32 v9, s4, v11, v9
	ds_write_b32 v28, v9 offset:3600
	v_pk_fma_f16 v9, v17, v8, v7 op_sel:[1,0,0] neg_lo:[1,0,0] neg_hi:[1,0,0]
	v_pk_fma_f16 v7, v17, v8, v7 op_sel:[1,0,0] neg_lo:[0,0,1] neg_hi:[0,0,1]
	v_pk_add_f16 v9, v9, v10 op_sel:[0,1] op_sel_hi:[1,0] neg_lo:[0,1] neg_hi:[0,1]
	v_pk_add_f16 v7, v7, v10 op_sel:[0,1] op_sel_hi:[1,0] neg_lo:[0,1] neg_hi:[0,1]
	v_bfi_b32 v7, s4, v9, v7
	ds_write_b32 v12, v7 offset:5040
	ds_read_b32 v7, v28 offset:3840
	ds_read_b32 v8, v12 offset:4800
	;; [unrolled: 22-line block ×3, first 2 shown]
	s_waitcnt lgkmcnt(0)
	v_pk_add_f16 v9, v7, v8 neg_lo:[0,1] neg_hi:[0,1]
	v_pk_add_f16 v7, v7, v8
	v_bfi_b32 v8, s4, v9, v7
	v_bfi_b32 v7, s4, v7, v9
	v_pk_mul_f16 v8, v8, 0.5 op_sel_hi:[1,0]
	v_pk_mul_f16 v7, v7, 0.5 op_sel_hi:[1,0]
	s_waitcnt vmcnt(0)
	v_pk_fma_f16 v9, v6, v8, v7 op_sel:[1,0,0]
	v_pk_mul_f16 v10, v6, v8 op_sel_hi:[0,1]
	v_pk_add_f16 v11, v9, v10 op_sel:[0,1] op_sel_hi:[1,0]
	v_pk_add_f16 v9, v9, v10 op_sel:[0,1] op_sel_hi:[1,0] neg_lo:[0,1] neg_hi:[0,1]
	v_bfi_b32 v9, s4, v11, v9
	ds_write_b32 v28, v9 offset:4080
	v_pk_fma_f16 v9, v6, v8, v7 op_sel:[1,0,0] neg_lo:[1,0,0] neg_hi:[1,0,0]
	v_pk_fma_f16 v6, v6, v8, v7 op_sel:[1,0,0] neg_lo:[0,0,1] neg_hi:[0,0,1]
	v_pk_add_f16 v9, v9, v10 op_sel:[0,1] op_sel_hi:[1,0] neg_lo:[0,1] neg_hi:[0,1]
	v_pk_add_f16 v6, v6, v10 op_sel:[0,1] op_sel_hi:[1,0] neg_lo:[0,1] neg_hi:[0,1]
	v_bfi_b32 v6, s4, v9, v6
	ds_write_b32 v12, v6 offset:4560
	s_waitcnt lgkmcnt(0)
	; wave barrier
	s_waitcnt lgkmcnt(0)
	s_and_saveexec_b64 s[4:5], s[0:1]
	s_cbranch_execz .LBB0_22
; %bb.20:
	v_mov_b32_e32 v9, s3
	v_add_co_u32_e32 v6, vcc, s2, v4
	ds_read2_b32 v[7:8], v28 offset1:60
	v_addc_co_u32_e32 v4, vcc, v9, v5, vcc
	v_add_co_u32_e32 v9, vcc, v6, v1
	v_addc_co_u32_e32 v10, vcc, v4, v2, vcc
	ds_read2_b32 v[1:2], v28 offset0:120 offset1:180
	v_add_u32_e32 v5, 0x200, v28
	ds_read2_b32 v[11:12], v5 offset0:112 offset1:172
	s_waitcnt lgkmcnt(2)
	global_store_dword v[9:10], v7, off
	global_store_dword v[9:10], v8, off offset:240
	s_waitcnt lgkmcnt(1)
	global_store_dword v[9:10], v1, off offset:480
	global_store_dword v[9:10], v2, off offset:720
	s_waitcnt lgkmcnt(0)
	global_store_dword v[9:10], v11, off offset:960
	global_store_dword v[9:10], v12, off offset:1200
	v_add_u32_e32 v1, 0x400, v28
	ds_read2_b32 v[1:2], v1 offset0:104 offset1:164
	v_add_u32_e32 v5, 0x600, v28
	ds_read2_b32 v[7:8], v5 offset0:96 offset1:156
	;; [unrolled: 2-line block ×3, first 2 shown]
	s_waitcnt lgkmcnt(2)
	global_store_dword v[9:10], v1, off offset:1440
	global_store_dword v[9:10], v2, off offset:1680
	s_waitcnt lgkmcnt(1)
	global_store_dword v[9:10], v7, off offset:1920
	global_store_dword v[9:10], v8, off offset:2160
	s_waitcnt lgkmcnt(0)
	global_store_dword v[9:10], v11, off offset:2400
	v_add_u32_e32 v1, 0xa00, v28
	ds_read2_b32 v[1:2], v1 offset0:80 offset1:140
	v_add_u32_e32 v5, 0xc00, v28
	ds_read2_b32 v[7:8], v5 offset0:72 offset1:132
	global_store_dword v[9:10], v12, off offset:2640
	ds_read2_b32 v[11:12], v5 offset0:192 offset1:252
	s_waitcnt lgkmcnt(2)
	global_store_dword v[9:10], v1, off offset:2880
	global_store_dword v[9:10], v2, off offset:3120
	s_waitcnt lgkmcnt(1)
	global_store_dword v[9:10], v7, off offset:3360
	global_store_dword v[9:10], v8, off offset:3600
	;; [unrolled: 3-line block ×3, first 2 shown]
	v_add_u32_e32 v5, 0x1000, v28
	ds_read2_b32 v[1:2], v5 offset0:56 offset1:116
	s_movk_i32 s0, 0x1000
	v_add_co_u32_e32 v7, vcc, s0, v9
	v_addc_co_u32_e32 v8, vcc, 0, v10, vcc
	ds_read2_b32 v[11:12], v5 offset0:176 offset1:236
	s_waitcnt lgkmcnt(1)
	global_store_dword v[7:8], v1, off offset:224
	v_add_u32_e32 v1, 0x1400, v28
	ds_read2_b32 v[13:14], v1 offset0:40 offset1:100
	global_store_dword v[7:8], v2, off offset:464
	ds_read2_b32 v[1:2], v1 offset0:160 offset1:220
	s_waitcnt lgkmcnt(2)
	global_store_dword v[7:8], v11, off offset:704
	global_store_dword v[7:8], v12, off offset:944
	s_waitcnt lgkmcnt(1)
	global_store_dword v[7:8], v13, off offset:1184
	global_store_dword v[7:8], v14, off offset:1424
	s_waitcnt lgkmcnt(0)
	global_store_dword v[7:8], v1, off offset:1664
	v_add_u32_e32 v1, 0x1800, v28
	ds_read2_b32 v[11:12], v1 offset0:24 offset1:84
	v_add_u32_e32 v5, 0x1c00, v28
	global_store_dword v[7:8], v2, off offset:1904
	ds_read2_b32 v[1:2], v1 offset0:144 offset1:204
	ds_read2_b32 v[13:14], v5 offset0:8 offset1:68
	s_waitcnt lgkmcnt(2)
	global_store_dword v[7:8], v11, off offset:2144
	global_store_dword v[7:8], v12, off offset:2384
	s_waitcnt lgkmcnt(1)
	global_store_dword v[7:8], v1, off offset:2624
	global_store_dword v[7:8], v2, off offset:2864
	;; [unrolled: 3-line block ×3, first 2 shown]
	v_or_b32_e32 v2, 0x780, v0
	ds_read2_b32 v[11:12], v5 offset0:128 offset1:188
	v_lshlrev_b64 v[1:2], 2, v[2:3]
	v_add_u32_e32 v3, 0x1e00, v28
	ds_read2_b32 v[13:14], v3 offset0:120 offset1:180
	v_add_co_u32_e32 v1, vcc, v6, v1
	v_addc_co_u32_e32 v2, vcc, v4, v2, vcc
	s_waitcnt lgkmcnt(1)
	global_store_dword v[1:2], v11, off
	global_store_dword v[7:8], v12, off offset:3824
	s_waitcnt lgkmcnt(0)
	global_store_dword v[7:8], v13, off offset:4064
	v_add_co_u32_e32 v1, vcc, 0x2000, v9
	v_addc_co_u32_e32 v2, vcc, 0, v10, vcc
	v_cmp_eq_u32_e32 vcc, 59, v0
	global_store_dword v[1:2], v14, off offset:208
	s_and_b64 exec, exec, vcc
	s_cbranch_execz .LBB0_22
; %bb.21:
	v_mov_b32_e32 v0, 0
	ds_read_b32 v2, v0 offset:8640
	v_add_co_u32_e32 v0, vcc, 0x2000, v6
	v_addc_co_u32_e32 v1, vcc, 0, v4, vcc
	s_waitcnt lgkmcnt(0)
	global_store_dword v[0:1], v2, off offset:448
.LBB0_22:
	s_endpgm
	.section	.rodata,"a",@progbits
	.p2align	6, 0x0
	.amdhsa_kernel fft_rtc_back_len2160_factors_10_6_6_6_wgs_60_tpt_60_halfLds_half_ip_CI_unitstride_sbrr_R2C_dirReg
		.amdhsa_group_segment_fixed_size 0
		.amdhsa_private_segment_fixed_size 0
		.amdhsa_kernarg_size 88
		.amdhsa_user_sgpr_count 6
		.amdhsa_user_sgpr_private_segment_buffer 1
		.amdhsa_user_sgpr_dispatch_ptr 0
		.amdhsa_user_sgpr_queue_ptr 0
		.amdhsa_user_sgpr_kernarg_segment_ptr 1
		.amdhsa_user_sgpr_dispatch_id 0
		.amdhsa_user_sgpr_flat_scratch_init 0
		.amdhsa_user_sgpr_private_segment_size 0
		.amdhsa_uses_dynamic_stack 0
		.amdhsa_system_sgpr_private_segment_wavefront_offset 0
		.amdhsa_system_sgpr_workgroup_id_x 1
		.amdhsa_system_sgpr_workgroup_id_y 0
		.amdhsa_system_sgpr_workgroup_id_z 0
		.amdhsa_system_sgpr_workgroup_info 0
		.amdhsa_system_vgpr_workitem_id 0
		.amdhsa_next_free_vgpr 121
		.amdhsa_next_free_sgpr 22
		.amdhsa_reserve_vcc 1
		.amdhsa_reserve_flat_scratch 0
		.amdhsa_float_round_mode_32 0
		.amdhsa_float_round_mode_16_64 0
		.amdhsa_float_denorm_mode_32 3
		.amdhsa_float_denorm_mode_16_64 3
		.amdhsa_dx10_clamp 1
		.amdhsa_ieee_mode 1
		.amdhsa_fp16_overflow 0
		.amdhsa_exception_fp_ieee_invalid_op 0
		.amdhsa_exception_fp_denorm_src 0
		.amdhsa_exception_fp_ieee_div_zero 0
		.amdhsa_exception_fp_ieee_overflow 0
		.amdhsa_exception_fp_ieee_underflow 0
		.amdhsa_exception_fp_ieee_inexact 0
		.amdhsa_exception_int_div_zero 0
	.end_amdhsa_kernel
	.text
.Lfunc_end0:
	.size	fft_rtc_back_len2160_factors_10_6_6_6_wgs_60_tpt_60_halfLds_half_ip_CI_unitstride_sbrr_R2C_dirReg, .Lfunc_end0-fft_rtc_back_len2160_factors_10_6_6_6_wgs_60_tpt_60_halfLds_half_ip_CI_unitstride_sbrr_R2C_dirReg
                                        ; -- End function
	.section	.AMDGPU.csdata,"",@progbits
; Kernel info:
; codeLenInByte = 21852
; NumSgprs: 26
; NumVgprs: 121
; ScratchSize: 0
; MemoryBound: 0
; FloatMode: 240
; IeeeMode: 1
; LDSByteSize: 0 bytes/workgroup (compile time only)
; SGPRBlocks: 3
; VGPRBlocks: 30
; NumSGPRsForWavesPerEU: 26
; NumVGPRsForWavesPerEU: 121
; Occupancy: 2
; WaveLimiterHint : 1
; COMPUTE_PGM_RSRC2:SCRATCH_EN: 0
; COMPUTE_PGM_RSRC2:USER_SGPR: 6
; COMPUTE_PGM_RSRC2:TRAP_HANDLER: 0
; COMPUTE_PGM_RSRC2:TGID_X_EN: 1
; COMPUTE_PGM_RSRC2:TGID_Y_EN: 0
; COMPUTE_PGM_RSRC2:TGID_Z_EN: 0
; COMPUTE_PGM_RSRC2:TIDIG_COMP_CNT: 0
	.type	__hip_cuid_8f830eac0ed2e0b4,@object ; @__hip_cuid_8f830eac0ed2e0b4
	.section	.bss,"aw",@nobits
	.globl	__hip_cuid_8f830eac0ed2e0b4
__hip_cuid_8f830eac0ed2e0b4:
	.byte	0                               ; 0x0
	.size	__hip_cuid_8f830eac0ed2e0b4, 1

	.ident	"AMD clang version 19.0.0git (https://github.com/RadeonOpenCompute/llvm-project roc-6.4.0 25133 c7fe45cf4b819c5991fe208aaa96edf142730f1d)"
	.section	".note.GNU-stack","",@progbits
	.addrsig
	.addrsig_sym __hip_cuid_8f830eac0ed2e0b4
	.amdgpu_metadata
---
amdhsa.kernels:
  - .args:
      - .actual_access:  read_only
        .address_space:  global
        .offset:         0
        .size:           8
        .value_kind:     global_buffer
      - .offset:         8
        .size:           8
        .value_kind:     by_value
      - .actual_access:  read_only
        .address_space:  global
        .offset:         16
        .size:           8
        .value_kind:     global_buffer
      - .actual_access:  read_only
        .address_space:  global
        .offset:         24
        .size:           8
        .value_kind:     global_buffer
      - .offset:         32
        .size:           8
        .value_kind:     by_value
      - .actual_access:  read_only
        .address_space:  global
        .offset:         40
        .size:           8
        .value_kind:     global_buffer
      - .actual_access:  read_only
        .address_space:  global
        .offset:         48
        .size:           8
        .value_kind:     global_buffer
      - .offset:         56
        .size:           4
        .value_kind:     by_value
      - .actual_access:  read_only
        .address_space:  global
        .offset:         64
        .size:           8
        .value_kind:     global_buffer
      - .actual_access:  read_only
        .address_space:  global
        .offset:         72
        .size:           8
        .value_kind:     global_buffer
      - .address_space:  global
        .offset:         80
        .size:           8
        .value_kind:     global_buffer
    .group_segment_fixed_size: 0
    .kernarg_segment_align: 8
    .kernarg_segment_size: 88
    .language:       OpenCL C
    .language_version:
      - 2
      - 0
    .max_flat_workgroup_size: 60
    .name:           fft_rtc_back_len2160_factors_10_6_6_6_wgs_60_tpt_60_halfLds_half_ip_CI_unitstride_sbrr_R2C_dirReg
    .private_segment_fixed_size: 0
    .sgpr_count:     26
    .sgpr_spill_count: 0
    .symbol:         fft_rtc_back_len2160_factors_10_6_6_6_wgs_60_tpt_60_halfLds_half_ip_CI_unitstride_sbrr_R2C_dirReg.kd
    .uniform_work_group_size: 1
    .uses_dynamic_stack: false
    .vgpr_count:     121
    .vgpr_spill_count: 0
    .wavefront_size: 64
amdhsa.target:   amdgcn-amd-amdhsa--gfx906
amdhsa.version:
  - 1
  - 2
...

	.end_amdgpu_metadata
